;; amdgpu-corpus repo=pytorch/pytorch kind=compiled arch=gfx1030 opt=O3
	.amdgcn_target "amdgcn-amd-amdhsa--gfx1030"
	.amdhsa_code_object_version 6
	.section	.text._ZN2at6native12_GLOBAL__N_125multi_tensor_apply_kernelINS1_32FusedOptimizerTensorListMetadataILi5EEENS1_22FusedAdamMathFunctorMPIfffN3c108BFloat16ES7_S7_Li5ELNS0_9ADAM_MODEE0ELb1EEEJPKfdddddbSB_SB_EEEvT_T0_DpT1_,"axG",@progbits,_ZN2at6native12_GLOBAL__N_125multi_tensor_apply_kernelINS1_32FusedOptimizerTensorListMetadataILi5EEENS1_22FusedAdamMathFunctorMPIfffN3c108BFloat16ES7_S7_Li5ELNS0_9ADAM_MODEE0ELb1EEEJPKfdddddbSB_SB_EEEvT_T0_DpT1_,comdat
	.globl	_ZN2at6native12_GLOBAL__N_125multi_tensor_apply_kernelINS1_32FusedOptimizerTensorListMetadataILi5EEENS1_22FusedAdamMathFunctorMPIfffN3c108BFloat16ES7_S7_Li5ELNS0_9ADAM_MODEE0ELb1EEEJPKfdddddbSB_SB_EEEvT_T0_DpT1_ ; -- Begin function _ZN2at6native12_GLOBAL__N_125multi_tensor_apply_kernelINS1_32FusedOptimizerTensorListMetadataILi5EEENS1_22FusedAdamMathFunctorMPIfffN3c108BFloat16ES7_S7_Li5ELNS0_9ADAM_MODEE0ELb1EEEJPKfdddddbSB_SB_EEEvT_T0_DpT1_
	.p2align	8
	.type	_ZN2at6native12_GLOBAL__N_125multi_tensor_apply_kernelINS1_32FusedOptimizerTensorListMetadataILi5EEENS1_22FusedAdamMathFunctorMPIfffN3c108BFloat16ES7_S7_Li5ELNS0_9ADAM_MODEE0ELb1EEEJPKfdddddbSB_SB_EEEvT_T0_DpT1_,@function
_ZN2at6native12_GLOBAL__N_125multi_tensor_apply_kernelINS1_32FusedOptimizerTensorListMetadataILi5EEENS1_22FusedAdamMathFunctorMPIfffN3c108BFloat16ES7_S7_Li5ELNS0_9ADAM_MODEE0ELb1EEEJPKfdddddbSB_SB_EEEvT_T0_DpT1_: ; @_ZN2at6native12_GLOBAL__N_125multi_tensor_apply_kernelINS1_32FusedOptimizerTensorListMetadataILi5EEENS1_22FusedAdamMathFunctorMPIfffN3c108BFloat16ES7_S7_Li5ELNS0_9ADAM_MODEE0ELb1EEEJPKfdddddbSB_SB_EEEvT_T0_DpT1_
; %bb.0:
	v_mov_b32_e32 v1, s6
	s_add_u32 s1, s4, s6
	s_mul_hi_u32 s3, s6, 3
	s_mul_i32 s6, s6, 3
	s_addc_u32 s7, s5, 0
	global_load_ubyte v1, v1, s[4:5] offset:1680
	s_clause 0x1
	s_load_dwordx8 s[8:15], s[4:5], 0xce0
	s_load_dwordx4 s[16:19], s[4:5], 0xd00
	s_add_u32 s2, s1, s6
	s_addc_u32 s3, s7, s3
	s_mov_b32 s1, 0
	s_waitcnt lgkmcnt(0)
	s_cmp_eq_u64 s[8:9], 0
	s_waitcnt vmcnt(0)
	v_readfirstlane_b32 s0, v1
	s_cbranch_scc1 .LBB0_20
; %bb.1:
	s_load_dword s6, s[8:9], 0x0
	s_waitcnt lgkmcnt(0)
	v_mov_b32_e32 v27, s6
	s_andn2_b32 vcc_lo, exec_lo, s1
	s_cbranch_vccnz .LBB0_3
.LBB0_2:
	v_cvt_f32_f64_e32 v27, s[10:11]
.LBB0_3:
	s_load_dwordx4 s[8:11], s[4:5], 0xd18
	s_waitcnt lgkmcnt(0)
	s_cmp_eq_u64 s[10:11], 0
	s_cselect_b32 s1, -1, 0
	s_and_b32 vcc_lo, exec_lo, s1
	s_cbranch_vccnz .LBB0_5
; %bb.4:
	s_load_dword s1, s[10:11], 0x0
	s_waitcnt lgkmcnt(0)
	v_cmp_neq_f32_e64 s1, s1, 1.0
.LBB0_5:
	s_andn2_b32 vcc_lo, exec_lo, s1
	s_cbranch_vccnz .LBB0_98
; %bb.6:
	s_load_dword s1, s[4:5], 0xd10
	v_cmp_neq_f64_e64 vcc_lo, s[12:13], 1.0
	s_mov_b32 s6, 0x55555555
	s_mov_b32 s7, 0x3fe55555
	;; [unrolled: 1-line block ×18, first 2 shown]
	s_waitcnt lgkmcnt(0)
	s_bitcmp1_b32 s1, 0
	s_mov_b32 s40, 0x9999999c
	s_cselect_b32 s33, -1, 0
	s_and_b32 s0, s0, 0xff
	s_mov_b32 s41, 0x3fd99999
	s_lshl_b32 s78, s0, 3
	s_clause 0x1
	s_load_dwordx2 s[0:1], s[4:5], s78 offset:0x5a0
	s_load_dwordx2 s[26:27], s[4:5], s78 offset:0x4b0
	s_mov_b32 s43, 0xbfe55555
	s_mov_b32 s42, s6
	;; [unrolled: 1-line block ×18, first 2 shown]
	s_waitcnt lgkmcnt(0)
	s_load_dword s0, s[0:1], 0x0
	s_mov_b32 s60, 0x623fde64
	s_mov_b32 s61, 0x3ec71dee
	;; [unrolled: 1-line block ×16, first 2 shown]
	s_waitcnt lgkmcnt(0)
	v_cvt_f64_f32_e32 v[3:4], s0
	v_cndmask_b32_e32 v2, 0x3ff00000, v4, vcc_lo
	v_cndmask_b32_e32 v1, 0, v3, vcc_lo
	v_cmp_neq_f64_e32 vcc_lo, 0, v[1:2]
	v_cmp_neq_f64_e64 s77, v[1:2], |v[1:2]|
	s_and_b32 s0, vcc_lo, exec_lo
	s_cselect_b32 s29, s13, 0x3ff00000
	s_cselect_b32 s28, s12, 0
	v_frexp_mant_f64_e64 v[5:6], |s[28:29]|
	v_cmp_lt_f64_e64 s79, |s[28:29]|, 1.0
	v_cmp_neq_f64_e64 s80, |s[28:29]|, 1.0
	v_cmp_eq_f64_e64 s81, s[28:29], 0
	v_cmp_class_f64_e64 s82, s[28:29], 0x204
	v_cmp_gt_f64_e32 vcc_lo, s[6:7], v[5:6]
	v_cndmask_b32_e64 v7, 0, 1, vcc_lo
	v_ldexp_f64 v[5:6], v[5:6], v7
	v_add_f64 v[7:8], v[5:6], 1.0
	v_add_f64 v[13:14], v[5:6], -1.0
	v_rcp_f64_e32 v[9:10], v[7:8]
	v_add_f64 v[15:16], v[7:8], -1.0
	v_add_f64 v[5:6], v[5:6], -v[15:16]
	v_fma_f64 v[11:12], -v[7:8], v[9:10], 1.0
	v_fma_f64 v[9:10], v[11:12], v[9:10], v[9:10]
	v_fma_f64 v[11:12], -v[7:8], v[9:10], 1.0
	v_fma_f64 v[9:10], v[11:12], v[9:10], v[9:10]
	v_mul_f64 v[11:12], v[13:14], v[9:10]
	v_mul_f64 v[17:18], v[7:8], v[11:12]
	v_fma_f64 v[7:8], v[11:12], v[7:8], -v[17:18]
	v_fma_f64 v[5:6], v[11:12], v[5:6], v[7:8]
	v_add_f64 v[7:8], v[17:18], v[5:6]
	v_add_f64 v[15:16], v[13:14], -v[7:8]
	v_add_f64 v[17:18], v[7:8], -v[17:18]
	;; [unrolled: 1-line block ×5, first 2 shown]
	v_add_f64 v[5:6], v[5:6], v[7:8]
	v_add_f64 v[5:6], v[15:16], v[5:6]
	v_mul_f64 v[5:6], v[9:10], v[5:6]
	v_add_f64 v[7:8], v[11:12], v[5:6]
	v_add_f64 v[9:10], v[7:8], -v[11:12]
	v_mul_f64 v[11:12], v[7:8], v[7:8]
	v_add_f64 v[5:6], v[5:6], -v[9:10]
	v_fma_f64 v[9:10], v[7:8], v[7:8], -v[11:12]
	v_add_f64 v[13:14], v[5:6], v[5:6]
	v_fma_f64 v[9:10], v[7:8], v[13:14], v[9:10]
	v_add_f64 v[13:14], v[11:12], v[9:10]
	v_fma_f64 v[15:16], v[13:14], s[20:21], s[10:11]
	v_add_f64 v[11:12], v[13:14], -v[11:12]
	v_mul_f64 v[21:22], v[7:8], v[13:14]
	v_fma_f64 v[15:16], v[13:14], v[15:16], s[22:23]
	v_add_f64 v[9:10], v[9:10], -v[11:12]
	v_fma_f64 v[15:16], v[13:14], v[15:16], s[24:25]
	v_fma_f64 v[15:16], v[13:14], v[15:16], s[30:31]
	;; [unrolled: 1-line block ×6, first 2 shown]
	v_mul_f64 v[17:18], v[13:14], v[15:16]
	v_fma_f64 v[11:12], v[13:14], v[15:16], -v[17:18]
	v_fma_f64 v[11:12], v[9:10], v[15:16], v[11:12]
	v_add_f64 v[15:16], v[17:18], v[11:12]
	v_add_f64 v[19:20], v[15:16], s[6:7]
	v_add_f64 v[17:18], v[15:16], -v[17:18]
	v_add_f64 v[23:24], v[19:20], s[42:43]
	v_add_f64 v[11:12], v[11:12], -v[17:18]
	v_fma_f64 v[17:18], v[13:14], v[7:8], -v[21:22]
	v_add_f64 v[15:16], v[15:16], -v[23:24]
	v_add_f64 v[11:12], v[11:12], s[46:47]
	v_fma_f64 v[13:14], v[13:14], v[5:6], v[17:18]
	v_ldexp_f64 v[5:6], v[5:6], 1
	v_add_f64 v[11:12], v[11:12], v[15:16]
	v_fma_f64 v[9:10], v[9:10], v[7:8], v[13:14]
	v_ldexp_f64 v[7:8], v[7:8], 1
	v_add_f64 v[13:14], v[19:20], v[11:12]
	v_add_f64 v[15:16], v[21:22], v[9:10]
	v_add_f64 v[17:18], v[19:20], -v[13:14]
	v_mul_f64 v[19:20], v[15:16], v[13:14]
	v_add_f64 v[21:22], v[15:16], -v[21:22]
	v_add_f64 v[11:12], v[11:12], v[17:18]
	v_fma_f64 v[17:18], v[15:16], v[13:14], -v[19:20]
	v_add_f64 v[9:10], v[9:10], -v[21:22]
	v_fma_f64 v[11:12], v[15:16], v[11:12], v[17:18]
	v_fma_f64 v[9:10], v[9:10], v[13:14], v[11:12]
	v_frexp_exp_i32_f64_e32 v13, s[28:29]
	v_add_f64 v[11:12], v[19:20], v[9:10]
	v_subrev_co_ci_u32_e64 v13, null, 0, v13, vcc_lo
	v_cvt_f64_i32_e32 v[13:14], v13
	v_add_f64 v[15:16], v[7:8], v[11:12]
	v_add_f64 v[17:18], v[11:12], -v[19:20]
	v_mul_f64 v[19:20], v[13:14], s[44:45]
	v_add_f64 v[7:8], v[15:16], -v[7:8]
	v_add_f64 v[9:10], v[9:10], -v[17:18]
	v_fma_f64 v[17:18], v[13:14], s[44:45], -v[19:20]
	v_add_f64 v[7:8], v[11:12], -v[7:8]
	v_add_f64 v[5:6], v[5:6], v[9:10]
	v_fma_f64 v[9:10], v[13:14], s[48:49], v[17:18]
	v_add_f64 v[5:6], v[5:6], v[7:8]
	v_add_f64 v[7:8], v[19:20], v[9:10]
	;; [unrolled: 1-line block ×3, first 2 shown]
	v_add_f64 v[19:20], v[7:8], -v[19:20]
	v_add_f64 v[13:14], v[7:8], v[11:12]
	v_add_f64 v[15:16], v[11:12], -v[15:16]
	v_add_f64 v[9:10], v[9:10], -v[19:20]
	;; [unrolled: 1-line block ×6, first 2 shown]
	v_add_f64 v[15:16], v[9:10], v[5:6]
	v_add_f64 v[7:8], v[7:8], -v[21:22]
	v_add_f64 v[7:8], v[11:12], v[7:8]
	v_add_f64 v[11:12], v[15:16], -v[9:10]
	;; [unrolled: 2-line block ×3, first 2 shown]
	v_add_f64 v[5:6], v[5:6], -v[11:12]
	v_add_f64 v[17:18], v[13:14], v[7:8]
	v_add_f64 v[9:10], v[9:10], -v[15:16]
	v_add_f64 v[11:12], v[17:18], -v[13:14]
	v_add_f64 v[5:6], v[5:6], v[9:10]
	v_add_f64 v[7:8], v[7:8], -v[11:12]
	v_add_f64 v[5:6], v[5:6], v[7:8]
	v_add_f64 v[7:8], v[17:18], v[5:6]
	v_add_f64 v[9:10], v[7:8], -v[17:18]
	v_mul_f64 v[11:12], v[1:2], v[7:8]
	v_add_f64 v[5:6], v[5:6], -v[9:10]
	v_fma_f64 v[7:8], v[1:2], v[7:8], -v[11:12]
	v_cmp_class_f64_e64 vcc_lo, v[11:12], 0x204
	v_fma_f64 v[5:6], v[1:2], v[5:6], v[7:8]
	v_add_f64 v[7:8], v[11:12], v[5:6]
	v_cndmask_b32_e32 v10, v8, v12, vcc_lo
	v_cndmask_b32_e32 v9, v7, v11, vcc_lo
	v_add_f64 v[7:8], v[7:8], -v[11:12]
	v_mul_f64 v[13:14], v[9:10], s[50:51]
	v_cmp_nlt_f64_e64 s0, 0x40900000, v[9:10]
	v_cmp_neq_f64_e64 vcc_lo, 0x7ff00000, |v[9:10]|
	v_cmp_ngt_f64_e64 s1, 0xc090cc00, v[9:10]
	v_add_f64 v[5:6], v[5:6], -v[7:8]
	v_trunc_f64_e32 v[7:8], v[1:2]
	v_rndne_f64_e32 v[13:14], v[13:14]
	v_cndmask_b32_e32 v6, 0, v6, vcc_lo
	v_cndmask_b32_e32 v5, 0, v5, vcc_lo
	s_and_b32 vcc_lo, s1, s0
	v_fma_f64 v[15:16], v[13:14], s[52:53], v[9:10]
	v_cvt_i32_f64_e32 v19, v[13:14]
	v_fma_f64 v[15:16], v[13:14], s[54:55], v[15:16]
	v_fma_f64 v[17:18], v[15:16], s[58:59], s[56:57]
	;; [unrolled: 1-line block ×10, first 2 shown]
	v_fma_f64 v[17:18], v[15:16], v[17:18], 1.0
	v_fma_f64 v[13:14], v[15:16], v[17:18], 1.0
	v_ldexp_f64 v[11:12], v[13:14], v19
	v_mul_f64 v[13:14], v[1:2], 0.5
	v_cndmask_b32_e64 v12, 0x7ff00000, v12, s0
	v_trunc_f64_e32 v[9:10], v[13:14]
	v_cndmask_b32_e32 v11, 0, v11, vcc_lo
	v_cmp_eq_f64_e32 vcc_lo, v[7:8], v[1:2]
	v_cndmask_b32_e64 v12, 0, v12, s1
	v_fma_f64 v[5:6], v[11:12], v[5:6], v[11:12]
	v_cmp_class_f64_e64 s1, v[11:12], 0x204
	v_cmp_neq_f64_e64 s0, v[9:10], v[13:14]
	v_cndmask_b32_e64 v6, v6, v12, s1
	v_cndmask_b32_e64 v5, v5, v11, s1
	v_cmp_gt_f64_e64 s1, 0, v[1:2]
	v_cndmask_b32_e32 v8, 0, v5, vcc_lo
	s_and_b32 s76, vcc_lo, s0
	s_and_b32 s0, s76, exec_lo
	s_cselect_b32 s0, s29, 0x3ff00000
	s_xor_b32 s77, s77, s79
	v_bfi_b32 v6, 0x7fffffff, v6, s0
	v_cmp_neq_f64_e64 s0, s[14:15], 1.0
	v_cndmask_b32_e32 v7, 0x7ff80000, v6, vcc_lo
	v_cmp_lt_f64_e64 vcc_lo, s[28:29], 0
	v_cndmask_b32_e64 v4, 0x3ff00000, v4, s0
	v_cndmask_b32_e64 v3, 0, v3, s0
	s_and_b32 s0, s77, exec_lo
	s_cselect_b32 s0, 0, 0x7ff00000
	s_and_b32 s77, s80, exec_lo
	v_cmp_class_f64_e64 s77, v[1:2], 0x204
	v_cndmask_b32_e32 v26, v5, v8, vcc_lo
	v_cndmask_b32_e32 v5, v6, v7, vcc_lo
	v_cmp_neq_f64_e32 vcc_lo, 0, v[3:4]
	s_cselect_b32 s0, s0, 0x3ff00000
	s_xor_b32 s1, s1, s81
	v_cndmask_b32_e64 v5, v5, s0, s77
	s_or_b32 s0, s81, s82
	s_and_b32 s1, s1, exec_lo
	s_cselect_b32 s1, 0, 0x7ff00000
	s_and_b32 s76, s76, exec_lo
	s_cselect_b32 s76, s29, 0
	s_or_b32 s79, s0, s77
	v_mov_b32_e32 v6, s76
	v_bfi_b32 v6, 0x7fffffff, s1, v6
	v_cndmask_b32_e64 v5, v5, v6, s0
	s_and_b32 s0, vcc_lo, exec_lo
	s_cselect_b32 s77, s15, 0x3ff00000
	s_cselect_b32 s76, s14, 0
	v_frexp_mant_f64_e64 v[6:7], |s[76:77]|
	v_cmp_gt_f64_e32 vcc_lo, s[6:7], v[6:7]
	v_cndmask_b32_e64 v8, 0, 1, vcc_lo
	v_ldexp_f64 v[6:7], v[6:7], v8
	v_add_f64 v[8:9], v[6:7], 1.0
	v_add_f64 v[14:15], v[6:7], -1.0
	v_rcp_f64_e32 v[10:11], v[8:9]
	v_add_f64 v[16:17], v[8:9], -1.0
	v_add_f64 v[6:7], v[6:7], -v[16:17]
	v_fma_f64 v[12:13], -v[8:9], v[10:11], 1.0
	v_fma_f64 v[10:11], v[12:13], v[10:11], v[10:11]
	v_fma_f64 v[12:13], -v[8:9], v[10:11], 1.0
	v_fma_f64 v[10:11], v[12:13], v[10:11], v[10:11]
	v_mul_f64 v[12:13], v[14:15], v[10:11]
	v_mul_f64 v[18:19], v[8:9], v[12:13]
	v_fma_f64 v[8:9], v[12:13], v[8:9], -v[18:19]
	v_fma_f64 v[6:7], v[12:13], v[6:7], v[8:9]
	v_add_f64 v[8:9], v[18:19], v[6:7]
	v_add_f64 v[16:17], v[14:15], -v[8:9]
	v_add_f64 v[18:19], v[8:9], -v[18:19]
	;; [unrolled: 1-line block ×5, first 2 shown]
	v_add_f64 v[6:7], v[6:7], v[8:9]
	v_add_f64 v[6:7], v[16:17], v[6:7]
	v_mul_f64 v[6:7], v[10:11], v[6:7]
	v_add_f64 v[8:9], v[12:13], v[6:7]
	v_add_f64 v[10:11], v[8:9], -v[12:13]
	v_mul_f64 v[12:13], v[8:9], v[8:9]
	v_add_f64 v[6:7], v[6:7], -v[10:11]
	v_fma_f64 v[10:11], v[8:9], v[8:9], -v[12:13]
	v_add_f64 v[14:15], v[6:7], v[6:7]
	v_fma_f64 v[10:11], v[8:9], v[14:15], v[10:11]
	v_add_f64 v[14:15], v[12:13], v[10:11]
	v_fma_f64 v[16:17], v[14:15], s[20:21], s[10:11]
	v_add_f64 v[12:13], v[14:15], -v[12:13]
	v_mul_f64 v[22:23], v[8:9], v[14:15]
	v_cmp_neq_f64_e64 s10, |s[76:77]|, 1.0
	v_cmp_eq_f64_e64 s11, s[76:77], 0
	v_cmp_class_f64_e64 s20, s[76:77], 0x204
	v_fma_f64 v[16:17], v[14:15], v[16:17], s[22:23]
	v_add_f64 v[10:11], v[10:11], -v[12:13]
	v_fma_f64 v[16:17], v[14:15], v[16:17], s[24:25]
	v_fma_f64 v[16:17], v[14:15], v[16:17], s[30:31]
	;; [unrolled: 1-line block ×6, first 2 shown]
	s_mov_b32 s41, 0
	v_mul_f64 v[18:19], v[14:15], v[16:17]
	v_fma_f64 v[12:13], v[14:15], v[16:17], -v[18:19]
	v_fma_f64 v[12:13], v[10:11], v[16:17], v[12:13]
	v_add_f64 v[16:17], v[18:19], v[12:13]
	v_add_f64 v[20:21], v[16:17], s[6:7]
	v_add_f64 v[18:19], v[16:17], -v[18:19]
	v_cmp_lt_f64_e64 s7, |s[76:77]|, 1.0
	v_add_f64 v[24:25], v[20:21], s[42:43]
	v_add_f64 v[12:13], v[12:13], -v[18:19]
	v_fma_f64 v[18:19], v[14:15], v[8:9], -v[22:23]
	v_add_f64 v[16:17], v[16:17], -v[24:25]
	v_add_f64 v[12:13], v[12:13], s[46:47]
	v_fma_f64 v[14:15], v[14:15], v[6:7], v[18:19]
	v_ldexp_f64 v[6:7], v[6:7], 1
	v_add_f64 v[12:13], v[12:13], v[16:17]
	v_fma_f64 v[10:11], v[10:11], v[8:9], v[14:15]
	v_ldexp_f64 v[8:9], v[8:9], 1
	v_add_f64 v[14:15], v[20:21], v[12:13]
	v_add_f64 v[16:17], v[22:23], v[10:11]
	v_add_f64 v[18:19], v[20:21], -v[14:15]
	v_mul_f64 v[20:21], v[16:17], v[14:15]
	v_add_f64 v[22:23], v[16:17], -v[22:23]
	v_add_f64 v[12:13], v[12:13], v[18:19]
	v_fma_f64 v[18:19], v[16:17], v[14:15], -v[20:21]
	v_add_f64 v[10:11], v[10:11], -v[22:23]
	v_fma_f64 v[12:13], v[16:17], v[12:13], v[18:19]
	v_fma_f64 v[10:11], v[10:11], v[14:15], v[12:13]
	v_frexp_exp_i32_f64_e32 v14, s[76:77]
	v_add_f64 v[12:13], v[20:21], v[10:11]
	v_subrev_co_ci_u32_e64 v14, null, 0, v14, vcc_lo
	v_cvt_f64_i32_e32 v[14:15], v14
	v_add_f64 v[16:17], v[8:9], v[12:13]
	v_add_f64 v[18:19], v[12:13], -v[20:21]
	v_mul_f64 v[20:21], v[14:15], s[44:45]
	v_add_f64 v[8:9], v[16:17], -v[8:9]
	v_add_f64 v[10:11], v[10:11], -v[18:19]
	v_fma_f64 v[18:19], v[14:15], s[44:45], -v[20:21]
	v_add_f64 v[8:9], v[12:13], -v[8:9]
	v_add_f64 v[6:7], v[6:7], v[10:11]
	v_fma_f64 v[10:11], v[14:15], s[48:49], v[18:19]
	v_add_f64 v[6:7], v[6:7], v[8:9]
	v_add_f64 v[8:9], v[20:21], v[10:11]
	;; [unrolled: 1-line block ×3, first 2 shown]
	v_add_f64 v[20:21], v[8:9], -v[20:21]
	v_add_f64 v[14:15], v[8:9], v[12:13]
	v_add_f64 v[16:17], v[12:13], -v[16:17]
	v_add_f64 v[10:11], v[10:11], -v[20:21]
	;; [unrolled: 1-line block ×6, first 2 shown]
	v_add_f64 v[16:17], v[10:11], v[6:7]
	v_add_f64 v[8:9], v[8:9], -v[22:23]
	v_add_f64 v[8:9], v[12:13], v[8:9]
	v_add_f64 v[12:13], v[16:17], -v[10:11]
	;; [unrolled: 2-line block ×3, first 2 shown]
	v_add_f64 v[6:7], v[6:7], -v[12:13]
	v_add_f64 v[18:19], v[14:15], v[8:9]
	v_add_f64 v[10:11], v[10:11], -v[16:17]
	v_add_f64 v[12:13], v[18:19], -v[14:15]
	v_add_f64 v[6:7], v[6:7], v[10:11]
	v_add_f64 v[8:9], v[8:9], -v[12:13]
	v_add_f64 v[6:7], v[6:7], v[8:9]
	v_add_f64 v[8:9], v[18:19], v[6:7]
	v_add_f64 v[10:11], v[8:9], -v[18:19]
	v_mul_f64 v[12:13], v[3:4], v[8:9]
	v_add_f64 v[6:7], v[6:7], -v[10:11]
	v_fma_f64 v[8:9], v[3:4], v[8:9], -v[12:13]
	v_cmp_class_f64_e64 vcc_lo, v[12:13], 0x204
	v_fma_f64 v[6:7], v[3:4], v[6:7], v[8:9]
	v_add_f64 v[8:9], v[12:13], v[6:7]
	v_cndmask_b32_e32 v11, v9, v13, vcc_lo
	v_cndmask_b32_e32 v10, v8, v12, vcc_lo
	v_add_f64 v[8:9], v[8:9], -v[12:13]
	v_mul_f64 v[14:15], v[10:11], s[50:51]
	v_cmp_nlt_f64_e64 s0, 0x40900000, v[10:11]
	v_cmp_neq_f64_e64 vcc_lo, 0x7ff00000, |v[10:11]|
	v_cmp_ngt_f64_e64 s1, 0xc090cc00, v[10:11]
	v_add_f64 v[6:7], v[6:7], -v[8:9]
	v_trunc_f64_e32 v[8:9], v[3:4]
	v_rndne_f64_e32 v[14:15], v[14:15]
	v_cndmask_b32_e32 v7, 0, v7, vcc_lo
	v_cndmask_b32_e32 v6, 0, v6, vcc_lo
	s_and_b32 vcc_lo, s1, s0
	v_fma_f64 v[16:17], v[14:15], s[52:53], v[10:11]
	v_cvt_i32_f64_e32 v20, v[14:15]
	v_fma_f64 v[16:17], v[14:15], s[54:55], v[16:17]
	v_fma_f64 v[18:19], v[16:17], s[58:59], s[56:57]
	;; [unrolled: 1-line block ×10, first 2 shown]
	v_fma_f64 v[18:19], v[16:17], v[18:19], 1.0
	v_fma_f64 v[14:15], v[16:17], v[18:19], 1.0
	v_ldexp_f64 v[12:13], v[14:15], v20
	v_mul_f64 v[14:15], v[3:4], 0.5
	v_cndmask_b32_e64 v13, 0x7ff00000, v13, s0
	v_trunc_f64_e32 v[10:11], v[14:15]
	v_cndmask_b32_e32 v12, 0, v12, vcc_lo
	v_cmp_eq_f64_e32 vcc_lo, v[8:9], v[3:4]
	v_cndmask_b32_e64 v13, 0, v13, s1
	v_fma_f64 v[6:7], v[12:13], v[6:7], v[12:13]
	v_cmp_class_f64_e64 s1, v[12:13], 0x204
	v_cmp_neq_f64_e64 s0, v[10:11], v[14:15]
	v_cndmask_b32_e64 v6, v6, v12, s1
	v_cndmask_b32_e64 v7, v7, v13, s1
	v_cmp_neq_f64_e64 s1, v[3:4], |v[3:4]|
	v_cndmask_b32_e32 v9, 0, v6, vcc_lo
	s_and_b32 s6, vcc_lo, s0
	s_and_b32 s0, s6, exec_lo
	s_cselect_b32 s0, s77, 0x3ff00000
	v_bfi_b32 v7, 0x7fffffff, v7, s0
	v_cmp_gt_f64_e64 s0, 0, v[3:4]
	v_cndmask_b32_e32 v8, 0x7ff80000, v7, vcc_lo
	v_cmp_lt_f64_e64 vcc_lo, s[76:77], 0
	s_xor_b32 s1, s1, s7
	s_and_b32 s1, s1, exec_lo
	s_cselect_b32 s1, 0, 0x7ff00000
	s_and_b32 s7, s10, exec_lo
	v_cmp_class_f64_e64 s7, v[3:4], 0x204
	s_cselect_b32 s1, s1, 0x3ff00000
	s_xor_b32 s0, s0, s11
	v_cndmask_b32_e32 v7, v7, v8, vcc_lo
	v_cndmask_b32_e32 v6, v6, v9, vcc_lo
	s_or_b32 vcc_lo, s11, s20
	s_and_b32 s0, s0, exec_lo
	s_cselect_b32 s0, 0, 0x7ff00000
	v_cndmask_b32_e64 v7, v7, s1, s7
	s_and_b32 s1, s6, exec_lo
	s_cselect_b32 s1, s77, 0
	v_mov_b32_e32 v8, s1
	v_bfi_b32 v8, 0x7fffffff, s0, v8
	s_or_b32 s0, vcc_lo, s7
	v_cndmask_b32_e64 v6, v6, 0, s0
	v_cndmask_b32_e32 v7, v7, v8, vcc_lo
	v_cmp_o_f64_e32 vcc_lo, s[76:77], v[3:4]
	v_add_f64 v[6:7], -v[6:7], 1.0
	v_cndmask_b32_e32 v4, 0x7ff80000, v7, vcc_lo
	v_cndmask_b32_e32 v3, 0, v6, vcc_lo
	v_cmp_gt_f64_e32 vcc_lo, 0x10000000, v[3:4]
	s_and_b32 s0, vcc_lo, exec_lo
	s_cselect_b32 s0, 0x100, 0
	s_cselect_b32 s38, 0xffffff80, 0
	v_ldexp_f64 v[6:7], v[3:4], s0
	s_clause 0x5
	s_load_dword s0, s[2:3], 0x7d0
	s_load_dwordx2 s[6:7], s[4:5], s78 offset:0x0
	s_load_dwordx2 s[10:11], s[4:5], s78 offset:0xf0
	s_load_dwordx2 s[20:21], s[4:5], s78 offset:0x1e0
	s_load_dwordx2 s[22:23], s[4:5], s78 offset:0x2d0
	s_load_dwordx2 s[24:25], s[4:5], s78 offset:0x3c0
	v_cmp_o_f64_e32 vcc_lo, s[28:29], v[1:2]
	s_waitcnt lgkmcnt(0)
	s_ashr_i32 s1, s0, 31
	s_lshl_b64 s[2:3], s[0:1], 16
	v_rsq_f64_e32 v[3:4], v[6:7]
	s_sub_u32 s2, s26, s2
	s_subb_u32 s3, s27, s3
	s_lshl_b64 s[30:31], s[0:1], 18
	s_mov_b32 s27, s41
	s_add_u32 s6, s6, s30
	s_addc_u32 s7, s7, s31
	s_add_u32 s10, s10, s30
	s_addc_u32 s11, s11, s31
	s_lshl_b64 s[30:31], s[0:1], 17
	s_add_u32 s34, s20, s30
	s_addc_u32 s35, s21, s31
	s_add_u32 s36, s22, s30
	s_addc_u32 s37, s23, s31
	s_or_b32 s0, s6, s10
	s_and_b32 s0, s0, 15
	s_cmp_lg_u32 s0, 0
	s_cselect_b32 s0, -1, 0
	s_and_b32 s40, s34, 7
	v_mul_f64 v[8:9], v[6:7], v[3:4]
	v_mul_f64 v[3:4], v[3:4], 0.5
	s_cmp_lg_u64 s[40:41], 0
	s_cselect_b32 s1, -1, 0
	s_and_b32 s40, s36, 7
	s_cmp_lg_u64 s[40:41], 0
	s_cselect_b32 s28, -1, 0
	s_or_b32 s1, s0, s1
	v_cmp_class_f64_e64 s0, v[6:7], 0x260
	s_or_b32 s1, s1, s28
	v_fma_f64 v[10:11], -v[3:4], v[8:9], 0.5
	v_fma_f64 v[8:9], v[8:9], v[10:11], v[8:9]
	v_fma_f64 v[3:4], v[3:4], v[10:11], v[3:4]
	v_fma_f64 v[10:11], -v[8:9], v[8:9], v[6:7]
	v_fma_f64 v[8:9], v[10:11], v[3:4], v[8:9]
	v_fma_f64 v[10:11], -v[8:9], v[8:9], v[6:7]
	v_fma_f64 v[8:9], v[10:11], v[3:4], v[8:9]
	v_cndmask_b32_e64 v4, v26, 0, s79
	v_add_f64 v[3:4], -v[4:5], 1.0
	v_ldexp_f64 v[1:2], v[8:9], s38
	s_add_u32 s38, s24, s30
	s_addc_u32 s39, s25, s31
	s_and_b32 s26, s26, 3
	s_and_b32 s40, s38, 7
	s_or_b64 s[26:27], s[40:41], s[26:27]
	v_cndmask_b32_e32 v12, 0x7ff80000, v4, vcc_lo
	s_cmp_lg_u64 s[26:27], 0
	v_cndmask_b32_e32 v11, 0, v3, vcc_lo
	s_cselect_b32 s26, -1, 0
	s_or_b32 s1, s1, s26
	s_andn2_b32 vcc_lo, exec_lo, s1
	v_cndmask_b32_e64 v10, v2, v7, s0
	v_cndmask_b32_e64 v9, v1, v6, s0
	s_mov_b32 s0, -1
	s_cbranch_vccz .LBB0_22
; %bb.7:
	v_cmp_gt_i64_e64 s0, 0x10000, s[2:3]
	v_mov_b32_e32 v14, 0
	v_lshlrev_b32_e32 v13, 2, v0
	s_mov_b32 s40, exec_lo
	s_and_b32 s0, s0, exec_lo
	s_cselect_b32 s27, s3, 0
	s_cselect_b32 s26, s2, 0x10000
	v_cmpx_gt_i64_e64 s[26:27], v[13:14]
	s_cbranch_execz .LBB0_21
; %bb.8:
	v_cvt_f32_f64_e32 v4, v[11:12]
	v_cvt_f32_f64_e32 v28, s[16:17]
	s_load_dword s0, s[4:5], 0xd34
	v_cvt_f32_f64_e32 v29, s[18:19]
	v_cvt_f32_f64_e32 v30, v[9:10]
	;; [unrolled: 1-line block ×4, first 2 shown]
	s_cmp_lg_u64 s[8:9], 0
	v_lshl_or_b32 v33, v0, 3, s30
	v_mov_b32_e32 v34, s31
	v_lshlrev_b32_e32 v35, 4, v0
	v_mov_b32_e32 v36, 0x7fc0
	s_cselect_b32 s42, -1, 0
	s_mov_b64 s[28:29], s[10:11]
	s_mov_b64 s[30:31], s[6:7]
	s_waitcnt lgkmcnt(0)
	s_and_b32 s43, s0, 0xffff
	v_div_scale_f32 v2, null, v4, v4, v27
	v_div_scale_f32 v3, vcc_lo, v27, v4, v27
	v_cmp_neq_f32_e64 s0, 0, v28
	v_rcp_f32_e32 v5, v2
	s_lshl_b32 s44, s43, 3
	s_lshl_b32 s45, s43, 4
	v_fma_f32 v1, -v2, v5, 1.0
	v_fmac_f32_e32 v5, v1, v5
	v_mov_b32_e32 v1, v14
	v_mul_f32_e32 v6, v3, v5
	v_mov_b32_e32 v16, v1
	v_mov_b32_e32 v15, v0
	v_fma_f32 v7, -v2, v6, v3
	v_fmac_f32_e32 v6, v7, v5
	v_fma_f32 v7, -v2, v6, v3
	v_mov_b32_e32 v2, v13
	v_mov_b32_e32 v3, v14
	v_div_fmas_f32 v5, v7, v5, v6
	v_div_fixup_f32 v13, v5, v4, v27
	s_branch .LBB0_10
.LBB0_9:                                ;   in Loop: Header=BB0_10 Depth=1
	v_add_co_u32 v15, vcc_lo, v15, s43
	v_add_co_ci_u32_e64 v16, null, 0, v16, vcc_lo
	v_add_co_u32 v33, s1, v33, s44
	s_add_u32 s30, s30, s45
	v_lshlrev_b64 v[2:3], 2, v[15:16]
	v_add_co_ci_u32_e64 v34, null, 0, v34, s1
	s_addc_u32 s31, s31, 0
	s_add_u32 s28, s28, s45
	s_addc_u32 s29, s29, 0
	v_cmp_le_i64_e32 vcc_lo, s[26:27], v[2:3]
	s_or_b32 s41, vcc_lo, s41
	s_andn2_b32 exec_lo, exec_lo, s41
	s_cbranch_execz .LBB0_21
.LBB0_10:                               ; =>This Inner Loop Header: Depth=1
	v_lshlrev_b64 v[1:2], 1, v[2:3]
	v_add_co_u32 v19, s1, s30, v35
	v_add_co_ci_u32_e64 v20, null, s31, 0, s1
	v_add_co_u32 v17, s1, s28, v35
	v_add_co_u32 v21, vcc_lo, s34, v1
	v_add_co_ci_u32_e64 v22, null, s35, v2, vcc_lo
	v_add_co_u32 v23, vcc_lo, s36, v1
	v_add_co_ci_u32_e64 v18, null, s29, 0, s1
	v_add_co_ci_u32_e64 v24, null, s37, v2, vcc_lo
	v_add_co_u32 v25, vcc_lo, s38, v1
	v_add_co_ci_u32_e64 v26, null, s39, v2, vcc_lo
	global_load_dwordx4 v[5:8], v[19:20], off
	global_load_dwordx4 v[1:4], v[17:18], off
	global_load_dwordx2 v[21:22], v[21:22], off
	global_load_dwordx2 v[23:24], v[23:24], off
	;; [unrolled: 1-line block ×3, first 2 shown]
	s_andn2_b32 vcc_lo, exec_lo, s42
	s_cbranch_vccnz .LBB0_12
; %bb.11:                               ;   in Loop: Header=BB0_10 Depth=1
	global_load_dword v37, v14, s[8:9]
	s_waitcnt vmcnt(0)
	v_div_scale_f32 v38, null, v37, v37, v1
	v_rcp_f32_e32 v39, v38
	v_fma_f32 v40, -v38, v39, 1.0
	v_fmac_f32_e32 v39, v40, v39
	v_div_scale_f32 v40, vcc_lo, v1, v37, v1
	v_mul_f32_e32 v41, v40, v39
	v_fma_f32 v42, -v38, v41, v40
	v_fmac_f32_e32 v41, v42, v39
	v_fma_f32 v38, -v38, v41, v40
	v_div_fmas_f32 v38, v38, v39, v41
	v_div_fixup_f32 v1, v38, v37, v1
.LBB0_12:                               ;   in Loop: Header=BB0_10 Depth=1
	s_andn2_b32 vcc_lo, exec_lo, s42
	s_cbranch_vccnz .LBB0_14
; %bb.13:                               ;   in Loop: Header=BB0_10 Depth=1
	global_load_dword v37, v14, s[8:9]
	s_waitcnt vmcnt(0)
	v_div_scale_f32 v38, null, v37, v37, v2
	v_rcp_f32_e32 v39, v38
	v_fma_f32 v40, -v38, v39, 1.0
	v_fmac_f32_e32 v39, v40, v39
	v_div_scale_f32 v40, vcc_lo, v2, v37, v2
	v_mul_f32_e32 v41, v40, v39
	v_fma_f32 v42, -v38, v41, v40
	v_fmac_f32_e32 v41, v42, v39
	v_fma_f32 v38, -v38, v41, v40
	v_div_fmas_f32 v38, v38, v39, v41
	v_div_fixup_f32 v2, v38, v37, v2
.LBB0_14:                               ;   in Loop: Header=BB0_10 Depth=1
	;; [unrolled: 17-line block ×4, first 2 shown]
	s_waitcnt vmcnt(3)
	v_cndmask_b32_e64 v38, v3, -v3, s33
	s_waitcnt vmcnt(2)
	v_lshlrev_b32_e32 v37, 16, v22
	s_waitcnt vmcnt(1)
	v_lshlrev_b32_e32 v40, 16, v24
	s_waitcnt vmcnt(0)
	v_lshlrev_b32_e32 v41, 16, v26
	v_fma_f32 v39, v7, v28, v38
	v_cndmask_b32_e64 v38, v38, v39, s0
	v_fma_f32 v39, -v31, v38, v38
	v_fmac_f32_e32 v39, v31, v37
	v_mul_f32_e32 v37, v38, v38
	v_fma_f32 v38, -v32, v37, v37
	v_max_f32_e32 v37, v41, v41
	v_fmac_f32_e32 v38, v32, v40
	v_max_f32_e32 v37, v37, v38
	v_cmp_gt_f32_e32 vcc_lo, 0xf800000, v37
	v_mul_f32_e32 v40, 0x4f800000, v37
	v_cndmask_b32_e32 v40, v37, v40, vcc_lo
	v_sqrt_f32_e32 v41, v40
	v_add_nc_u32_e32 v42, -1, v41
	v_fma_f32 v43, -v42, v41, v40
	v_cmp_ge_f32_e64 s1, 0, v43
	v_add_nc_u32_e32 v43, 1, v41
	v_cndmask_b32_e64 v42, v41, v42, s1
	v_fma_f32 v41, -v43, v41, v40
	v_cmp_lt_f32_e64 s1, 0, v41
	v_cndmask_b32_e64 v41, v42, v43, s1
	v_mul_f32_e32 v42, 0x37800000, v41
	v_cndmask_b32_e32 v41, v41, v42, vcc_lo
	v_cmp_class_f32_e64 vcc_lo, v40, 0x260
	v_cndmask_b32_e32 v40, v41, v40, vcc_lo
	v_div_scale_f32 v41, null, v30, v30, v40
	v_rcp_f32_e32 v42, v41
	v_fma_f32 v43, -v41, v42, 1.0
	v_fmac_f32_e32 v42, v43, v42
	v_div_scale_f32 v43, vcc_lo, v40, v30, v40
	v_mul_f32_e32 v44, v43, v42
	v_fma_f32 v45, -v41, v44, v43
	v_fmac_f32_e32 v44, v45, v42
	v_fma_f32 v41, -v41, v44, v43
	v_div_fmas_f32 v41, v41, v42, v44
	v_div_fixup_f32 v40, v41, v30, v40
	v_mul_f32_e32 v41, v13, v39
	v_add_f32_e32 v40, v40, v29
	v_div_scale_f32 v42, null, v40, v40, v41
	v_rcp_f32_e32 v43, v42
	v_fma_f32 v44, -v42, v43, 1.0
	v_fmac_f32_e32 v43, v44, v43
	v_div_scale_f32 v44, vcc_lo, v41, v40, v41
	v_mul_f32_e32 v45, v44, v43
	v_fma_f32 v46, -v42, v45, v44
	v_fmac_f32_e32 v45, v46, v43
	v_fma_f32 v42, -v42, v45, v44
	v_div_fmas_f32 v42, v42, v43, v45
	v_div_fixup_f32 v40, v42, v40, v41
	v_and_b32_e32 v41, 0xffff0000, v23
	v_and_b32_e32 v42, 0xffff0000, v25
	v_sub_f32_e32 v43, v7, v40
	v_cndmask_b32_e64 v40, v2, -v2, s33
	v_and_b32_e32 v7, 0xffff0000, v21
	v_fma_f32 v44, v6, v28, v40
	v_cndmask_b32_e64 v40, v40, v44, s0
	v_fma_f32 v45, -v31, v40, v40
	v_fmac_f32_e32 v45, v31, v7
	v_mul_f32_e32 v7, v40, v40
	v_fma_f32 v40, -v32, v7, v7
	v_max_f32_e32 v7, v42, v42
	v_fmac_f32_e32 v40, v32, v41
	v_max_f32_e32 v7, v7, v40
	v_cmp_gt_f32_e32 vcc_lo, 0xf800000, v7
	v_mul_f32_e32 v41, 0x4f800000, v7
	v_cndmask_b32_e32 v41, v7, v41, vcc_lo
	v_sqrt_f32_e32 v42, v41
	v_add_nc_u32_e32 v44, -1, v42
	v_fma_f32 v46, -v44, v42, v41
	v_cmp_ge_f32_e64 s1, 0, v46
	v_add_nc_u32_e32 v46, 1, v42
	v_cndmask_b32_e64 v44, v42, v44, s1
	v_fma_f32 v42, -v46, v42, v41
	v_cmp_lt_f32_e64 s1, 0, v42
	v_cndmask_b32_e64 v42, v44, v46, s1
	v_mul_f32_e32 v44, 0x37800000, v42
	v_cndmask_b32_e32 v42, v42, v44, vcc_lo
	v_cmp_class_f32_e64 vcc_lo, v41, 0x260
	v_cndmask_b32_e32 v41, v42, v41, vcc_lo
	v_div_scale_f32 v42, null, v30, v30, v41
	v_rcp_f32_e32 v44, v42
	v_fma_f32 v46, -v42, v44, 1.0
	v_fmac_f32_e32 v44, v46, v44
	v_div_scale_f32 v46, vcc_lo, v41, v30, v41
	v_mul_f32_e32 v47, v46, v44
	v_fma_f32 v48, -v42, v47, v46
	v_fmac_f32_e32 v47, v48, v44
	v_fma_f32 v42, -v42, v47, v46
	v_div_fmas_f32 v42, v42, v44, v47
	v_div_fixup_f32 v41, v42, v30, v41
	v_mul_f32_e32 v42, v13, v45
	v_add_f32_e32 v41, v41, v29
	v_div_scale_f32 v44, null, v41, v41, v42
	v_rcp_f32_e32 v46, v44
	v_fma_f32 v47, -v44, v46, 1.0
	v_fmac_f32_e32 v46, v47, v46
	v_div_scale_f32 v47, vcc_lo, v42, v41, v42
	v_mul_f32_e32 v48, v47, v46
	v_fma_f32 v49, -v44, v48, v47
	v_fmac_f32_e32 v48, v49, v46
	v_fma_f32 v44, -v44, v48, v47
	v_div_fmas_f32 v44, v44, v46, v48
	v_div_fixup_f32 v41, v44, v41, v42
	v_sub_f32_e32 v42, v6, v41
	v_lshlrev_b32_e32 v6, 16, v21
	v_lshlrev_b32_e32 v21, 16, v23
	;; [unrolled: 1-line block ×3, first 2 shown]
	v_cndmask_b32_e64 v25, v1, -v1, s33
	v_fma_f32 v41, v5, v28, v25
	v_cndmask_b32_e64 v25, v25, v41, s0
	v_fma_f32 v46, -v31, v25, v25
	v_fmac_f32_e32 v46, v31, v6
	v_mul_f32_e32 v6, v25, v25
	v_fma_f32 v25, -v32, v6, v6
	v_max_f32_e32 v6, v23, v23
	v_fmac_f32_e32 v25, v32, v21
	v_max_f32_e32 v21, v6, v25
	v_cmp_gt_f32_e32 vcc_lo, 0xf800000, v21
	v_mul_f32_e32 v6, 0x4f800000, v21
	v_cndmask_b32_e32 v6, v21, v6, vcc_lo
	v_sqrt_f32_e32 v23, v6
	v_add_nc_u32_e32 v41, -1, v23
	v_fma_f32 v44, -v41, v23, v6
	v_cmp_ge_f32_e64 s1, 0, v44
	v_add_nc_u32_e32 v44, 1, v23
	v_cndmask_b32_e64 v41, v23, v41, s1
	v_fma_f32 v23, -v44, v23, v6
	v_cmp_lt_f32_e64 s1, 0, v23
	v_cndmask_b32_e64 v23, v41, v44, s1
	v_mul_f32_e32 v41, 0x37800000, v23
	v_cndmask_b32_e32 v23, v23, v41, vcc_lo
	v_cmp_class_f32_e64 vcc_lo, v6, 0x260
	v_cndmask_b32_e32 v6, v23, v6, vcc_lo
	v_div_scale_f32 v23, null, v30, v30, v6
	v_rcp_f32_e32 v41, v23
	v_fma_f32 v44, -v23, v41, 1.0
	v_fmac_f32_e32 v41, v44, v41
	v_div_scale_f32 v44, vcc_lo, v6, v30, v6
	v_mul_f32_e32 v47, v44, v41
	v_fma_f32 v48, -v23, v47, v44
	v_fmac_f32_e32 v47, v48, v41
	v_fma_f32 v23, -v23, v47, v44
	v_div_fmas_f32 v23, v23, v41, v47
	v_div_fixup_f32 v6, v23, v30, v6
	v_mul_f32_e32 v23, v13, v46
	v_add_f32_e32 v6, v6, v29
	v_div_scale_f32 v41, null, v6, v6, v23
	v_rcp_f32_e32 v44, v41
	v_fma_f32 v47, -v41, v44, 1.0
	v_fmac_f32_e32 v44, v47, v44
	v_div_scale_f32 v47, vcc_lo, v23, v6, v23
	v_mul_f32_e32 v48, v47, v44
	v_fma_f32 v49, -v41, v48, v47
	v_fmac_f32_e32 v48, v49, v44
	v_fma_f32 v41, -v41, v48, v47
	v_div_fmas_f32 v41, v41, v44, v48
	v_div_fixup_f32 v6, v41, v6, v23
	v_cndmask_b32_e64 v23, v4, -v4, s33
	v_sub_f32_e32 v41, v5, v6
	v_and_b32_e32 v6, 0xffff0000, v24
	v_fma_f32 v24, v8, v28, v23
	v_and_b32_e32 v5, 0xffff0000, v22
	v_and_b32_e32 v22, 0xffff0000, v26
	v_cndmask_b32_e64 v23, v23, v24, s0
	v_fma_f32 v24, -v31, v23, v23
	v_fmac_f32_e32 v24, v31, v5
	v_mul_f32_e32 v5, v23, v23
	v_fma_f32 v23, -v32, v5, v5
	v_max_f32_e32 v5, v22, v22
	v_fmac_f32_e32 v23, v32, v6
	v_max_f32_e32 v22, v5, v23
	v_cmp_gt_f32_e32 vcc_lo, 0xf800000, v22
	v_mul_f32_e32 v5, 0x4f800000, v22
	v_cndmask_b32_e32 v5, v22, v5, vcc_lo
	v_sqrt_f32_e32 v6, v5
	v_add_nc_u32_e32 v26, -1, v6
	v_fma_f32 v44, -v26, v6, v5
	v_cmp_ge_f32_e64 s1, 0, v44
	v_add_nc_u32_e32 v44, 1, v6
	v_cndmask_b32_e64 v26, v6, v26, s1
	v_fma_f32 v6, -v44, v6, v5
	v_cmp_lt_f32_e64 s1, 0, v6
	v_cndmask_b32_e64 v6, v26, v44, s1
	v_mul_f32_e32 v26, 0x37800000, v6
	v_cndmask_b32_e32 v6, v6, v26, vcc_lo
	v_cmp_class_f32_e64 vcc_lo, v5, 0x260
	v_cndmask_b32_e32 v5, v6, v5, vcc_lo
	v_div_scale_f32 v6, null, v30, v30, v5
	v_rcp_f32_e32 v26, v6
	v_fma_f32 v44, -v6, v26, 1.0
	v_fmac_f32_e32 v26, v44, v26
	v_div_scale_f32 v44, vcc_lo, v5, v30, v5
	v_mul_f32_e32 v47, v44, v26
	v_fma_f32 v48, -v6, v47, v44
	v_fmac_f32_e32 v47, v48, v26
	v_fma_f32 v6, -v6, v47, v44
	v_div_fmas_f32 v6, v6, v26, v47
	v_div_fixup_f32 v5, v6, v30, v5
	v_mul_f32_e32 v6, v13, v24
	v_add_f32_e32 v5, v5, v29
	v_div_scale_f32 v26, null, v5, v5, v6
	v_rcp_f32_e32 v44, v26
	v_fma_f32 v47, -v26, v44, 1.0
	v_fmac_f32_e32 v44, v47, v44
	v_div_scale_f32 v47, vcc_lo, v6, v5, v6
	v_mul_f32_e32 v48, v47, v44
	v_fma_f32 v49, -v26, v48, v47
	v_fmac_f32_e32 v48, v49, v44
	v_fma_f32 v26, -v26, v48, v47
	v_div_fmas_f32 v26, v26, v44, v48
	v_div_fixup_f32 v5, v26, v5, v6
	v_sub_f32_e32 v44, v8, v5
	v_bfe_u32 v5, v46, 16, 1
	global_store_dwordx4 v[19:20], v[41:44], off
	v_add3_u32 v5, v46, v5, 0x7fff
	v_lshrrev_b32_e32 v8, 16, v5
	v_bfe_u32 v5, v45, 16, 1
	v_add3_u32 v5, v45, v5, 0x7fff
	v_and_b32_e32 v19, 0xffff0000, v5
	v_bfe_u32 v5, v39, 16, 1
	v_add3_u32 v5, v39, v5, 0x7fff
	v_lshrrev_b32_e32 v20, 16, v5
	v_bfe_u32 v5, v24, 16, 1
	v_add3_u32 v26, v24, v5, 0x7fff
	v_add_co_u32 v5, vcc_lo, s20, v33
	v_add_co_ci_u32_e64 v6, null, s21, v34, vcc_lo
	v_and_b32_e32 v26, 0xffff0000, v26
	v_cmp_o_f32_e32 vcc_lo, v24, v24
	v_cndmask_b32_e32 v24, 0x7fc00000, v26, vcc_lo
	v_cmp_o_f32_e32 vcc_lo, v39, v39
	v_cndmask_b32_e32 v20, 0x7fc0, v20, vcc_lo
	v_cmp_o_f32_e32 vcc_lo, v45, v45
	v_or3_b32 v20, 0, v20, v24
	v_cndmask_b32_e32 v19, 0x7fc00000, v19, vcc_lo
	v_cmp_o_f32_e32 vcc_lo, v46, v46
	v_cndmask_b32_e32 v8, 0x7fc0, v8, vcc_lo
	v_or_b32_e32 v8, v19, v8
	v_or3_b32 v19, v8, 0, 0
	global_store_dwordx2 v[5:6], v[19:20], off
	v_bfe_u32 v5, v25, 16, 1
	v_add3_u32 v5, v25, v5, 0x7fff
	v_lshrrev_b32_e32 v8, 16, v5
	v_bfe_u32 v5, v40, 16, 1
	v_add3_u32 v5, v40, v5, 0x7fff
	v_and_b32_e32 v19, 0xffff0000, v5
	v_bfe_u32 v5, v38, 16, 1
	v_add3_u32 v5, v38, v5, 0x7fff
	v_lshrrev_b32_e32 v20, 16, v5
	v_bfe_u32 v5, v23, 16, 1
	v_add3_u32 v24, v23, v5, 0x7fff
	v_add_co_u32 v5, vcc_lo, s22, v33
	v_add_co_ci_u32_e64 v6, null, s23, v34, vcc_lo
	v_and_b32_e32 v24, 0xffff0000, v24
	v_cmp_o_f32_e32 vcc_lo, v23, v23
	v_cndmask_b32_e32 v23, 0x7fc00000, v24, vcc_lo
	v_cmp_o_f32_e32 vcc_lo, v38, v38
	v_cndmask_b32_e32 v20, 0x7fc0, v20, vcc_lo
	v_cmp_o_f32_e32 vcc_lo, v40, v40
	v_or3_b32 v20, 0, v20, v23
	v_cndmask_b32_e32 v19, 0x7fc00000, v19, vcc_lo
	v_cmp_o_f32_e32 vcc_lo, v25, v25
	v_cndmask_b32_e32 v8, 0x7fc0, v8, vcc_lo
	v_or_b32_e32 v8, v19, v8
	v_or3_b32 v19, v8, 0, 0
	global_store_dwordx2 v[5:6], v[19:20], off
	v_bfe_u32 v5, v21, 16, 1
	v_add3_u32 v8, v21, v5, 0x7fff
	v_bfe_u32 v5, v7, 16, 1
	v_add3_u32 v5, v7, v5, 0x7fff
	v_and_b32_e32 v19, 0xffff0000, v5
	v_bfe_u32 v5, v37, 16, 1
	v_add3_u32 v20, v37, v5, 0x7fff
	v_bfe_u32 v5, v22, 16, 1
	v_add3_u32 v23, v22, v5, 0x7fff
	v_add_co_u32 v5, vcc_lo, s24, v33
	v_add_co_ci_u32_e64 v6, null, s25, v34, vcc_lo
	v_and_b32_e32 v23, 0xffff0000, v23
	v_cmp_o_f32_e32 vcc_lo, v22, v22
	v_cndmask_b32_e32 v22, 0x7fc00000, v23, vcc_lo
	v_cmp_o_f32_e32 vcc_lo, v37, v37
	v_cndmask_b32_sdwa v20, v36, v20, vcc_lo dst_sel:DWORD dst_unused:UNUSED_PAD src0_sel:DWORD src1_sel:WORD_1
	v_cmp_o_f32_e32 vcc_lo, v7, v7
	v_cndmask_b32_e32 v7, 0x7fc00000, v19, vcc_lo
	v_cmp_o_f32_e32 vcc_lo, v21, v21
	v_cndmask_b32_sdwa v8, v36, v8, vcc_lo dst_sel:DWORD dst_unused:UNUSED_PAD src0_sel:DWORD src1_sel:WORD_1
	s_andn2_b32 vcc_lo, exec_lo, s42
	v_or_b32_e32 v7, v7, v8
	v_or3_b32 v8, 0, v20, v22
	v_or3_b32 v7, v7, 0, 0
	global_store_dwordx2 v[5:6], v[7:8], off
	s_cbranch_vccnz .LBB0_9
; %bb.19:                               ;   in Loop: Header=BB0_10 Depth=1
	global_store_dwordx4 v[17:18], v[1:4], off
	s_branch .LBB0_9
.LBB0_20:
                                        ; implicit-def: $sgpr6
	v_mov_b32_e32 v27, s6
	s_branch .LBB0_2
.LBB0_21:
	s_or_b32 exec_lo, exec_lo, s40
	s_mov_b32 s0, 0
.LBB0_22:
	s_andn2_b32 vcc_lo, exec_lo, s0
	s_cbranch_vccnz .LBB0_98
; %bb.23:
	v_cmp_lt_i64_e64 s0, s[2:3], 1
	s_and_b32 vcc_lo, exec_lo, s0
	s_cbranch_vccnz .LBB0_98
; %bb.24:
	v_cvt_f32_f64_e32 v1, v[11:12]
	s_load_dword s0, s[4:5], 0xd34
	v_cvt_f32_f64_e32 v11, s[16:17]
	v_cvt_f32_f64_e32 v13, s[18:19]
	;; [unrolled: 1-line block ×5, first 2 shown]
	v_cmp_gt_i64_e64 s1, 0x10000, s[2:3]
	v_cmp_gt_u64_e64 s4, 0x10000, s[2:3]
	v_mov_b32_e32 v12, 0
	v_mov_b32_e32 v16, 0x7fc0
	s_mov_b64 s[16:17], 0
	s_and_b32 s1, s1, exec_lo
	s_cselect_b32 s13, s3, 0
	s_cselect_b32 s12, s2, 0x10000
	s_waitcnt lgkmcnt(0)
	s_and_b32 s18, s0, 0xffff
	v_div_scale_f32 v2, null, v1, v1, v27
	v_div_scale_f32 v5, vcc_lo, v27, v1, v27
	s_and_b32 s0, s4, exec_lo
	v_rcp_f32_e32 v3, v2
	s_cselect_b32 s15, s3, 0
	s_cselect_b32 s14, s2, 0x10000
	s_lshl_b32 s19, s18, 1
	v_cmp_neq_f32_e64 s0, 0, v11
	s_cmp_lg_u64 s[8:9], 0
	s_mul_i32 s20, s18, 3
	s_cselect_b32 s21, -1, 0
	s_lshl_b32 s22, s18, 2
	v_fma_f32 v4, -v2, v3, 1.0
	v_fmac_f32_e32 v3, v4, v3
	v_mul_f32_e32 v4, v5, v3
	v_fma_f32 v6, -v2, v4, v5
	v_fmac_f32_e32 v4, v6, v3
	v_fma_f32 v2, -v2, v4, v5
	v_div_fmas_f32 v2, v2, v3, v4
	v_div_fixup_f32 v15, v2, v1, v27
	s_branch .LBB0_27
.LBB0_25:                               ;   in Loop: Header=BB0_27 Depth=1
	s_or_b32 exec_lo, exec_lo, s1
.LBB0_26:                               ;   in Loop: Header=BB0_27 Depth=1
	s_add_u32 s16, s16, s22
	s_addc_u32 s17, s17, 0
	v_cmp_ge_i64_e64 s1, s[16:17], s[12:13]
	s_and_b32 vcc_lo, exec_lo, s1
	s_cbranch_vccnz .LBB0_98
.LBB0_27:                               ; =>This Inner Loop Header: Depth=1
	v_add_co_u32 v1, s1, s16, v0
	v_add_co_ci_u32_e64 v2, null, s17, 0, s1
	v_mov_b32_e32 v26, 0
	v_mov_b32_e32 v17, 0
	;; [unrolled: 1-line block ×3, first 2 shown]
	v_cmp_gt_u64_e64 s1, s[14:15], v[1:2]
	v_mov_b32_e32 v33, 0
	s_and_saveexec_b32 s2, s1
	s_cbranch_execz .LBB0_29
; %bb.28:                               ;   in Loop: Header=BB0_27 Depth=1
	v_lshlrev_b64 v[3:4], 2, v[1:2]
	v_lshlrev_b64 v[5:6], 1, v[1:2]
	v_add_co_u32 v7, vcc_lo, s6, v3
	v_add_co_ci_u32_e64 v8, null, s7, v4, vcc_lo
	v_add_co_u32 v17, vcc_lo, s34, v5
	v_add_co_ci_u32_e64 v18, null, s35, v6, vcc_lo
	;; [unrolled: 2-line block ×4, first 2 shown]
	global_load_ushort v18, v[17:18], off
	global_load_ushort v5, v[5:6], off
	global_load_dword v26, v[7:8], off
	global_load_dword v17, v[3:4], off
	s_waitcnt vmcnt(3)
	v_lshlrev_b32_e32 v23, 16, v18
	s_waitcnt vmcnt(2)
	v_lshlrev_b32_e32 v33, 16, v5
.LBB0_29:                               ;   in Loop: Header=BB0_27 Depth=1
	s_or_b32 exec_lo, exec_lo, s2
	v_add_co_u32 v3, vcc_lo, v1, s18
	v_add_co_ci_u32_e64 v4, null, 0, v2, vcc_lo
	v_mov_b32_e32 v29, 0
	v_mov_b32_e32 v24, 0
	v_mov_b32_e32 v18, 0
	v_cmp_gt_u64_e64 s2, s[14:15], v[3:4]
	s_and_saveexec_b32 s3, s2
	s_cbranch_execz .LBB0_31
; %bb.30:                               ;   in Loop: Header=BB0_27 Depth=1
	v_lshlrev_b64 v[5:6], 2, v[3:4]
	v_add_co_u32 v7, vcc_lo, s6, v5
	v_add_co_ci_u32_e64 v8, null, s7, v6, vcc_lo
	v_add_co_u32 v5, vcc_lo, s10, v5
	v_add_co_ci_u32_e64 v6, null, s11, v6, vcc_lo
	global_load_dword v24, v[7:8], off
	global_load_dword v18, v[5:6], off
.LBB0_31:                               ;   in Loop: Header=BB0_27 Depth=1
	s_or_b32 exec_lo, exec_lo, s3
	v_mov_b32_e32 v32, 0
	s_and_saveexec_b32 s3, s2
	s_cbranch_execz .LBB0_33
; %bb.32:                               ;   in Loop: Header=BB0_27 Depth=1
	v_lshlrev_b64 v[5:6], 1, v[3:4]
	v_add_co_u32 v7, vcc_lo, s34, v5
	v_add_co_ci_u32_e64 v8, null, s35, v6, vcc_lo
	v_add_co_u32 v5, vcc_lo, s36, v5
	v_add_co_ci_u32_e64 v6, null, s37, v6, vcc_lo
	global_load_ushort v7, v[7:8], off
	global_load_ushort v5, v[5:6], off
	s_waitcnt vmcnt(1)
	v_lshlrev_b32_e32 v29, 16, v7
	s_waitcnt vmcnt(0)
	v_lshlrev_b32_e32 v32, 16, v5
.LBB0_33:                               ;   in Loop: Header=BB0_27 Depth=1
	s_or_b32 exec_lo, exec_lo, s3
	v_add_co_u32 v5, vcc_lo, v1, s19
	v_add_co_ci_u32_e64 v6, null, 0, v2, vcc_lo
	v_mov_b32_e32 v27, 0
	v_mov_b32_e32 v22, 0
	v_mov_b32_e32 v19, 0
	v_cmp_gt_u64_e64 s3, s[14:15], v[5:6]
	s_and_saveexec_b32 s4, s3
	s_cbranch_execz .LBB0_35
; %bb.34:                               ;   in Loop: Header=BB0_27 Depth=1
	v_lshlrev_b64 v[7:8], 2, v[5:6]
	v_add_co_u32 v19, vcc_lo, s6, v7
	v_add_co_ci_u32_e64 v20, null, s7, v8, vcc_lo
	v_add_co_u32 v7, vcc_lo, s10, v7
	v_add_co_ci_u32_e64 v8, null, s11, v8, vcc_lo
	global_load_dword v22, v[19:20], off
	global_load_dword v19, v[7:8], off
.LBB0_35:                               ;   in Loop: Header=BB0_27 Depth=1
	s_or_b32 exec_lo, exec_lo, s4
	v_mov_b32_e32 v30, 0
	s_and_saveexec_b32 s4, s3
	s_cbranch_execz .LBB0_37
; %bb.36:                               ;   in Loop: Header=BB0_27 Depth=1
	v_lshlrev_b64 v[7:8], 1, v[5:6]
	v_add_co_u32 v20, vcc_lo, s34, v7
	v_add_co_ci_u32_e64 v21, null, s35, v8, vcc_lo
	v_add_co_u32 v7, vcc_lo, s36, v7
	v_add_co_ci_u32_e64 v8, null, s37, v8, vcc_lo
	global_load_ushort v20, v[20:21], off
	global_load_ushort v7, v[7:8], off
	s_waitcnt vmcnt(1)
	v_lshlrev_b32_e32 v27, 16, v20
	s_waitcnt vmcnt(0)
	v_lshlrev_b32_e32 v30, 16, v7
.LBB0_37:                               ;   in Loop: Header=BB0_27 Depth=1
	;; [unrolled: 35-line block ×3, first 2 shown]
	s_or_b32 exec_lo, exec_lo, s5
	v_mov_b32_e32 v38, 0
	v_mov_b32_e32 v37, 0
	s_mov_b32 s5, exec_lo
	v_cmpx_gt_i64_e64 s[12:13], v[1:2]
	s_cbranch_execz .LBB0_43
; %bb.42:                               ;   in Loop: Header=BB0_27 Depth=1
	v_lshlrev_b64 v[34:35], 1, v[1:2]
	v_add_co_u32 v34, vcc_lo, s38, v34
	v_add_co_ci_u32_e64 v35, null, s39, v35, vcc_lo
	global_load_ushort v31, v[34:35], off
	s_waitcnt vmcnt(0)
	v_lshlrev_b32_e32 v37, 16, v31
.LBB0_43:                               ;   in Loop: Header=BB0_27 Depth=1
	s_or_b32 exec_lo, exec_lo, s5
	s_mov_b32 s5, exec_lo
	v_cmpx_gt_i64_e64 s[12:13], v[3:4]
	s_cbranch_execz .LBB0_45
; %bb.44:                               ;   in Loop: Header=BB0_27 Depth=1
	v_lshlrev_b64 v[34:35], 1, v[3:4]
	v_add_co_u32 v34, vcc_lo, s38, v34
	v_add_co_ci_u32_e64 v35, null, s39, v35, vcc_lo
	global_load_ushort v31, v[34:35], off
	s_waitcnt vmcnt(0)
	v_lshlrev_b32_e32 v38, 16, v31
.LBB0_45:                               ;   in Loop: Header=BB0_27 Depth=1
	s_or_b32 exec_lo, exec_lo, s5
	v_mov_b32_e32 v34, 0
	v_mov_b32_e32 v36, 0
	s_mov_b32 s5, exec_lo
	v_cmpx_gt_i64_e64 s[12:13], v[5:6]
	s_cbranch_execnz .LBB0_75
; %bb.46:                               ;   in Loop: Header=BB0_27 Depth=1
	s_or_b32 exec_lo, exec_lo, s5
	s_mov_b32 s5, exec_lo
	v_cmpx_gt_i64_e64 s[12:13], v[7:8]
	s_cbranch_execnz .LBB0_76
.LBB0_47:                               ;   in Loop: Header=BB0_27 Depth=1
	s_or_b32 exec_lo, exec_lo, s5
	s_and_b32 vcc_lo, exec_lo, s21
	s_cbranch_vccz .LBB0_49
.LBB0_48:                               ;   in Loop: Header=BB0_27 Depth=1
	global_load_dword v31, v12, s[8:9]
	s_waitcnt vmcnt(0)
	v_div_scale_f32 v35, null, v31, v31, v17
	v_rcp_f32_e32 v39, v35
	v_fma_f32 v40, -v35, v39, 1.0
	v_fmac_f32_e32 v39, v40, v39
	v_div_scale_f32 v40, vcc_lo, v17, v31, v17
	v_mul_f32_e32 v41, v40, v39
	v_fma_f32 v42, -v35, v41, v40
	v_fmac_f32_e32 v41, v42, v39
	v_fma_f32 v35, -v35, v41, v40
	v_div_fmas_f32 v35, v35, v39, v41
	v_div_fixup_f32 v17, v35, v31, v17
.LBB0_49:                               ;   in Loop: Header=BB0_27 Depth=1
	s_andn2_b32 vcc_lo, exec_lo, s21
	s_cbranch_vccnz .LBB0_51
; %bb.50:                               ;   in Loop: Header=BB0_27 Depth=1
	global_load_dword v31, v12, s[8:9]
	s_waitcnt vmcnt(0)
	v_div_scale_f32 v35, null, v31, v31, v18
	v_rcp_f32_e32 v39, v35
	v_fma_f32 v40, -v35, v39, 1.0
	v_fmac_f32_e32 v39, v40, v39
	v_div_scale_f32 v40, vcc_lo, v18, v31, v18
	v_mul_f32_e32 v41, v40, v39
	v_fma_f32 v42, -v35, v41, v40
	v_fmac_f32_e32 v41, v42, v39
	v_fma_f32 v35, -v35, v41, v40
	v_div_fmas_f32 v35, v35, v39, v41
	v_div_fixup_f32 v18, v35, v31, v18
.LBB0_51:                               ;   in Loop: Header=BB0_27 Depth=1
	s_andn2_b32 vcc_lo, exec_lo, s21
	s_cbranch_vccnz .LBB0_53
; %bb.52:                               ;   in Loop: Header=BB0_27 Depth=1
	global_load_dword v31, v12, s[8:9]
	s_waitcnt vmcnt(0)
	v_div_scale_f32 v35, null, v31, v31, v19
	v_rcp_f32_e32 v39, v35
	v_fma_f32 v40, -v35, v39, 1.0
	v_fmac_f32_e32 v39, v40, v39
	v_div_scale_f32 v40, vcc_lo, v19, v31, v19
	v_mul_f32_e32 v41, v40, v39
	v_fma_f32 v42, -v35, v41, v40
	v_fmac_f32_e32 v41, v42, v39
	v_fma_f32 v35, -v35, v41, v40
	v_div_fmas_f32 v35, v35, v39, v41
	v_div_fixup_f32 v19, v35, v31, v19
.LBB0_53:                               ;   in Loop: Header=BB0_27 Depth=1
	;; [unrolled: 17-line block ×3, first 2 shown]
	s_waitcnt vmcnt(0)
	v_cndmask_b32_e64 v31, v17, -v17, s33
	v_fma_f32 v35, v26, v11, v31
	v_cndmask_b32_e64 v35, v31, v35, s0
	v_mul_f32_e32 v31, v35, v35
	v_fma_f32 v35, -v10, v35, v35
	v_fma_f32 v31, -v14, v31, v31
	v_fmac_f32_e32 v35, v10, v23
	v_fmac_f32_e32 v31, v14, v33
	v_max_f32_e32 v33, v37, v37
	v_max_f32_e32 v23, v33, v31
	s_and_saveexec_b32 s23, s1
	s_cbranch_execz .LBB0_57
; %bb.56:                               ;   in Loop: Header=BB0_27 Depth=1
	v_mul_f32_e32 v33, 0x4f800000, v23
	v_cmp_gt_f32_e32 vcc_lo, 0xf800000, v23
	v_cndmask_b32_e32 v33, v23, v33, vcc_lo
	v_sqrt_f32_e32 v37, v33
	v_add_nc_u32_e32 v39, -1, v37
	v_add_nc_u32_e32 v40, 1, v37
	v_fma_f32 v41, -v39, v37, v33
	v_fma_f32 v42, -v40, v37, v33
	v_cmp_ge_f32_e64 s5, 0, v41
	v_cndmask_b32_e64 v37, v37, v39, s5
	v_cmp_lt_f32_e64 s5, 0, v42
	v_cndmask_b32_e64 v37, v37, v40, s5
	v_mul_f32_e32 v39, 0x37800000, v37
	v_cndmask_b32_e32 v37, v37, v39, vcc_lo
	v_cmp_class_f32_e64 vcc_lo, v33, 0x260
	v_cndmask_b32_e32 v33, v37, v33, vcc_lo
	v_div_scale_f32 v37, null, v9, v9, v33
	v_div_scale_f32 v41, vcc_lo, v33, v9, v33
	v_rcp_f32_e32 v39, v37
	v_fma_f32 v40, -v37, v39, 1.0
	v_fmac_f32_e32 v39, v40, v39
	v_mul_f32_e32 v40, v41, v39
	v_fma_f32 v42, -v37, v40, v41
	v_fmac_f32_e32 v40, v42, v39
	v_fma_f32 v37, -v37, v40, v41
	v_div_fmas_f32 v37, v37, v39, v40
	v_div_fixup_f32 v33, v37, v9, v33
	v_mul_f32_e32 v37, v15, v35
	v_add_f32_e32 v33, v33, v13
	v_div_scale_f32 v39, null, v33, v33, v37
	v_div_scale_f32 v42, vcc_lo, v37, v33, v37
	v_rcp_f32_e32 v40, v39
	v_fma_f32 v41, -v39, v40, 1.0
	v_fmac_f32_e32 v40, v41, v40
	v_mul_f32_e32 v41, v42, v40
	v_fma_f32 v43, -v39, v41, v42
	v_fmac_f32_e32 v41, v43, v40
	v_fma_f32 v39, -v39, v41, v42
	v_div_fmas_f32 v39, v39, v40, v41
	v_div_fixup_f32 v33, v39, v33, v37
	v_lshlrev_b64 v[39:40], 2, v[1:2]
	v_sub_f32_e32 v26, v26, v33
	v_add_co_u32 v39, vcc_lo, s6, v39
	v_add_co_ci_u32_e64 v40, null, s7, v40, vcc_lo
	global_store_dword v[39:40], v26, off
.LBB0_57:                               ;   in Loop: Header=BB0_27 Depth=1
	s_or_b32 exec_lo, exec_lo, s23
	v_cndmask_b32_e64 v26, v18, -v18, s33
	v_fma_f32 v33, v24, v11, v26
	v_cndmask_b32_e64 v26, v26, v33, s0
	v_mul_f32_e32 v33, v26, v26
	v_fma_f32 v37, -v10, v26, v26
	v_max_f32_e32 v26, v38, v38
	v_fma_f32 v33, -v14, v33, v33
	v_fmac_f32_e32 v37, v10, v29
	v_fmac_f32_e32 v33, v14, v32
	v_max_f32_e32 v26, v26, v33
	s_and_saveexec_b32 s23, s2
	s_cbranch_execz .LBB0_59
; %bb.58:                               ;   in Loop: Header=BB0_27 Depth=1
	v_mul_f32_e32 v29, 0x4f800000, v26
	v_cmp_gt_f32_e32 vcc_lo, 0xf800000, v26
	v_cndmask_b32_e32 v29, v26, v29, vcc_lo
	v_sqrt_f32_e32 v32, v29
	v_add_nc_u32_e32 v38, -1, v32
	v_add_nc_u32_e32 v39, 1, v32
	v_fma_f32 v40, -v38, v32, v29
	v_fma_f32 v41, -v39, v32, v29
	v_cmp_ge_f32_e64 s5, 0, v40
	v_cndmask_b32_e64 v32, v32, v38, s5
	v_cmp_lt_f32_e64 s5, 0, v41
	v_cndmask_b32_e64 v32, v32, v39, s5
	v_mul_f32_e32 v38, 0x37800000, v32
	v_cndmask_b32_e32 v32, v32, v38, vcc_lo
	v_cmp_class_f32_e64 vcc_lo, v29, 0x260
	v_cndmask_b32_e32 v29, v32, v29, vcc_lo
	v_div_scale_f32 v32, null, v9, v9, v29
	v_div_scale_f32 v40, vcc_lo, v29, v9, v29
	v_rcp_f32_e32 v38, v32
	v_fma_f32 v39, -v32, v38, 1.0
	v_fmac_f32_e32 v38, v39, v38
	v_mul_f32_e32 v39, v40, v38
	v_fma_f32 v41, -v32, v39, v40
	v_fmac_f32_e32 v39, v41, v38
	v_fma_f32 v32, -v32, v39, v40
	v_div_fmas_f32 v32, v32, v38, v39
	v_div_fixup_f32 v29, v32, v9, v29
	v_mul_f32_e32 v32, v15, v37
	v_add_f32_e32 v29, v29, v13
	v_div_scale_f32 v38, null, v29, v29, v32
	v_div_scale_f32 v41, vcc_lo, v32, v29, v32
	v_rcp_f32_e32 v39, v38
	v_fma_f32 v40, -v38, v39, 1.0
	v_fmac_f32_e32 v39, v40, v39
	v_mul_f32_e32 v40, v41, v39
	v_fma_f32 v42, -v38, v40, v41
	v_fmac_f32_e32 v40, v42, v39
	v_fma_f32 v38, -v38, v40, v41
	v_div_fmas_f32 v38, v38, v39, v40
	v_div_fixup_f32 v29, v38, v29, v32
	v_lshlrev_b64 v[38:39], 2, v[3:4]
	v_sub_f32_e32 v24, v24, v29
	v_add_co_u32 v38, vcc_lo, s6, v38
	v_add_co_ci_u32_e64 v39, null, s7, v39, vcc_lo
	global_store_dword v[38:39], v24, off
.LBB0_59:                               ;   in Loop: Header=BB0_27 Depth=1
	s_or_b32 exec_lo, exec_lo, s23
	v_cndmask_b32_e64 v24, v19, -v19, s33
	v_fma_f32 v29, v22, v11, v24
	v_cndmask_b32_e64 v24, v24, v29, s0
	v_mul_f32_e32 v29, v24, v24
	v_fma_f32 v32, -v10, v24, v24
	v_max_f32_e32 v24, v36, v36
	v_fma_f32 v29, -v14, v29, v29
	v_fmac_f32_e32 v32, v10, v27
	v_fmac_f32_e32 v29, v14, v30
	v_max_f32_e32 v24, v24, v29
	s_and_saveexec_b32 s23, s3
	s_cbranch_execz .LBB0_61
; %bb.60:                               ;   in Loop: Header=BB0_27 Depth=1
	v_mul_f32_e32 v27, 0x4f800000, v24
	v_cmp_gt_f32_e32 vcc_lo, 0xf800000, v24
	v_cndmask_b32_e32 v27, v24, v27, vcc_lo
	v_sqrt_f32_e32 v30, v27
	v_add_nc_u32_e32 v36, -1, v30
	v_add_nc_u32_e32 v38, 1, v30
	v_fma_f32 v39, -v36, v30, v27
	v_fma_f32 v40, -v38, v30, v27
	v_cmp_ge_f32_e64 s5, 0, v39
	v_cndmask_b32_e64 v30, v30, v36, s5
	v_cmp_lt_f32_e64 s5, 0, v40
	v_cndmask_b32_e64 v30, v30, v38, s5
	v_mul_f32_e32 v36, 0x37800000, v30
	v_cndmask_b32_e32 v30, v30, v36, vcc_lo
	v_cmp_class_f32_e64 vcc_lo, v27, 0x260
	v_cndmask_b32_e32 v27, v30, v27, vcc_lo
	v_div_scale_f32 v30, null, v9, v9, v27
	v_div_scale_f32 v39, vcc_lo, v27, v9, v27
	v_rcp_f32_e32 v36, v30
	v_fma_f32 v38, -v30, v36, 1.0
	v_fmac_f32_e32 v36, v38, v36
	v_mul_f32_e32 v38, v39, v36
	v_fma_f32 v40, -v30, v38, v39
	v_fmac_f32_e32 v38, v40, v36
	v_fma_f32 v30, -v30, v38, v39
	v_div_fmas_f32 v30, v30, v36, v38
	v_div_fixup_f32 v27, v30, v9, v27
	v_mul_f32_e32 v30, v15, v32
	v_add_f32_e32 v27, v27, v13
	v_div_scale_f32 v36, null, v27, v27, v30
	v_div_scale_f32 v40, vcc_lo, v30, v27, v30
	v_rcp_f32_e32 v38, v36
	v_fma_f32 v39, -v36, v38, 1.0
	v_fmac_f32_e32 v38, v39, v38
	v_mul_f32_e32 v39, v40, v38
	v_fma_f32 v41, -v36, v39, v40
	v_fmac_f32_e32 v39, v41, v38
	v_fma_f32 v36, -v36, v39, v40
	v_div_fmas_f32 v36, v36, v38, v39
	v_lshlrev_b64 v[38:39], 2, v[5:6]
	v_div_fixup_f32 v27, v36, v27, v30
	v_add_co_u32 v38, vcc_lo, s6, v38
	v_add_co_ci_u32_e64 v39, null, s7, v39, vcc_lo
	v_sub_f32_e32 v22, v22, v27
	global_store_dword v[38:39], v22, off
.LBB0_61:                               ;   in Loop: Header=BB0_27 Depth=1
	s_or_b32 exec_lo, exec_lo, s23
	v_cndmask_b32_e64 v22, v20, -v20, s33
	v_fma_f32 v27, v21, v11, v22
	v_cndmask_b32_e64 v22, v22, v27, s0
	v_mul_f32_e32 v27, v22, v22
	v_fma_f32 v30, -v10, v22, v22
	v_max_f32_e32 v22, v34, v34
	v_fma_f32 v27, -v14, v27, v27
	v_fmac_f32_e32 v30, v10, v25
	v_fmac_f32_e32 v27, v14, v28
	v_max_f32_e32 v22, v22, v27
	s_and_saveexec_b32 s23, s4
	s_cbranch_execnz .LBB0_77
; %bb.62:                               ;   in Loop: Header=BB0_27 Depth=1
	s_or_b32 exec_lo, exec_lo, s23
	s_and_saveexec_b32 s5, s1
	s_cbranch_execnz .LBB0_78
.LBB0_63:                               ;   in Loop: Header=BB0_27 Depth=1
	s_or_b32 exec_lo, exec_lo, s5
	s_and_saveexec_b32 s5, s2
	s_cbranch_execnz .LBB0_79
.LBB0_64:                               ;   in Loop: Header=BB0_27 Depth=1
	s_or_b32 exec_lo, exec_lo, s5
	s_and_saveexec_b32 s5, s3
	s_cbranch_execnz .LBB0_80
.LBB0_65:                               ;   in Loop: Header=BB0_27 Depth=1
	s_or_b32 exec_lo, exec_lo, s5
	s_and_saveexec_b32 s5, s4
	s_cbranch_execnz .LBB0_81
.LBB0_66:                               ;   in Loop: Header=BB0_27 Depth=1
	s_or_b32 exec_lo, exec_lo, s5
	s_and_saveexec_b32 s5, s1
	s_cbranch_execnz .LBB0_82
.LBB0_67:                               ;   in Loop: Header=BB0_27 Depth=1
	s_or_b32 exec_lo, exec_lo, s5
	s_and_saveexec_b32 s5, s2
	s_cbranch_execnz .LBB0_83
.LBB0_68:                               ;   in Loop: Header=BB0_27 Depth=1
	s_or_b32 exec_lo, exec_lo, s5
	s_and_saveexec_b32 s5, s3
	s_cbranch_execnz .LBB0_84
.LBB0_69:                               ;   in Loop: Header=BB0_27 Depth=1
	s_or_b32 exec_lo, exec_lo, s5
	s_and_saveexec_b32 s5, s4
	s_cbranch_execnz .LBB0_85
.LBB0_70:                               ;   in Loop: Header=BB0_27 Depth=1
	s_or_b32 exec_lo, exec_lo, s5
	s_and_saveexec_b32 s5, s1
	s_cbranch_execnz .LBB0_86
.LBB0_71:                               ;   in Loop: Header=BB0_27 Depth=1
	s_or_b32 exec_lo, exec_lo, s5
	s_and_saveexec_b32 s5, s2
	s_cbranch_execnz .LBB0_87
.LBB0_72:                               ;   in Loop: Header=BB0_27 Depth=1
	s_or_b32 exec_lo, exec_lo, s5
	s_and_saveexec_b32 s5, s3
	s_cbranch_execnz .LBB0_88
.LBB0_73:                               ;   in Loop: Header=BB0_27 Depth=1
	s_or_b32 exec_lo, exec_lo, s5
	s_and_saveexec_b32 s5, s4
	s_cbranch_execnz .LBB0_89
.LBB0_74:                               ;   in Loop: Header=BB0_27 Depth=1
	s_or_b32 exec_lo, exec_lo, s5
	s_and_b32 vcc_lo, exec_lo, s21
	s_cbranch_vccnz .LBB0_90
	s_branch .LBB0_26
.LBB0_75:                               ;   in Loop: Header=BB0_27 Depth=1
	v_lshlrev_b64 v[35:36], 1, v[5:6]
	v_add_co_u32 v35, vcc_lo, s38, v35
	v_add_co_ci_u32_e64 v36, null, s39, v36, vcc_lo
	global_load_ushort v31, v[35:36], off
	s_waitcnt vmcnt(0)
	v_lshlrev_b32_e32 v36, 16, v31
	s_or_b32 exec_lo, exec_lo, s5
	s_mov_b32 s5, exec_lo
	v_cmpx_gt_i64_e64 s[12:13], v[7:8]
	s_cbranch_execz .LBB0_47
.LBB0_76:                               ;   in Loop: Header=BB0_27 Depth=1
	v_lshlrev_b64 v[34:35], 1, v[7:8]
	v_add_co_u32 v34, vcc_lo, s38, v34
	v_add_co_ci_u32_e64 v35, null, s39, v35, vcc_lo
	global_load_ushort v31, v[34:35], off
	s_waitcnt vmcnt(0)
	v_lshlrev_b32_e32 v34, 16, v31
	s_or_b32 exec_lo, exec_lo, s5
	s_and_b32 vcc_lo, exec_lo, s21
	s_cbranch_vccnz .LBB0_48
	s_branch .LBB0_49
.LBB0_77:                               ;   in Loop: Header=BB0_27 Depth=1
	v_mul_f32_e32 v25, 0x4f800000, v22
	v_cmp_gt_f32_e32 vcc_lo, 0xf800000, v22
	v_cndmask_b32_e32 v25, v22, v25, vcc_lo
	v_sqrt_f32_e32 v28, v25
	v_add_nc_u32_e32 v34, -1, v28
	v_add_nc_u32_e32 v36, 1, v28
	v_fma_f32 v38, -v34, v28, v25
	v_fma_f32 v39, -v36, v28, v25
	v_cmp_ge_f32_e64 s5, 0, v38
	v_cndmask_b32_e64 v28, v28, v34, s5
	v_cmp_lt_f32_e64 s5, 0, v39
	v_cndmask_b32_e64 v28, v28, v36, s5
	v_mul_f32_e32 v34, 0x37800000, v28
	v_cndmask_b32_e32 v28, v28, v34, vcc_lo
	v_cmp_class_f32_e64 vcc_lo, v25, 0x260
	v_cndmask_b32_e32 v25, v28, v25, vcc_lo
	v_div_scale_f32 v28, null, v9, v9, v25
	v_div_scale_f32 v38, vcc_lo, v25, v9, v25
	v_rcp_f32_e32 v34, v28
	v_fma_f32 v36, -v28, v34, 1.0
	v_fmac_f32_e32 v34, v36, v34
	v_mul_f32_e32 v36, v38, v34
	v_fma_f32 v39, -v28, v36, v38
	v_fmac_f32_e32 v36, v39, v34
	v_fma_f32 v28, -v28, v36, v38
	v_div_fmas_f32 v28, v28, v34, v36
	v_div_fixup_f32 v25, v28, v9, v25
	v_mul_f32_e32 v28, v15, v30
	v_add_f32_e32 v25, v25, v13
	v_div_scale_f32 v34, null, v25, v25, v28
	v_div_scale_f32 v39, vcc_lo, v28, v25, v28
	v_rcp_f32_e32 v36, v34
	v_fma_f32 v38, -v34, v36, 1.0
	v_fmac_f32_e32 v36, v38, v36
	v_mul_f32_e32 v38, v39, v36
	v_fma_f32 v40, -v34, v38, v39
	v_fmac_f32_e32 v38, v40, v36
	v_fma_f32 v34, -v34, v38, v39
	v_div_fmas_f32 v34, v34, v36, v38
	v_lshlrev_b64 v[38:39], 2, v[7:8]
	v_div_fixup_f32 v25, v34, v25, v28
	v_add_co_u32 v38, vcc_lo, s6, v38
	v_add_co_ci_u32_e64 v39, null, s7, v39, vcc_lo
	v_sub_f32_e32 v21, v21, v25
	global_store_dword v[38:39], v21, off
	s_or_b32 exec_lo, exec_lo, s23
	s_and_saveexec_b32 s5, s1
	s_cbranch_execz .LBB0_63
.LBB0_78:                               ;   in Loop: Header=BB0_27 Depth=1
	v_bfe_u32 v21, v35, 16, 1
	v_cmp_o_f32_e32 vcc_lo, v35, v35
	v_add3_u32 v21, v35, v21, 0x7fff
	v_lshlrev_b64 v[34:35], 1, v[1:2]
	v_cndmask_b32_sdwa v21, v16, v21, vcc_lo dst_sel:DWORD dst_unused:UNUSED_PAD src0_sel:DWORD src1_sel:WORD_1
	v_add_co_u32 v34, vcc_lo, s34, v34
	v_add_co_ci_u32_e64 v35, null, s35, v35, vcc_lo
	global_store_short v[34:35], v21, off
	s_or_b32 exec_lo, exec_lo, s5
	s_and_saveexec_b32 s5, s2
	s_cbranch_execz .LBB0_64
.LBB0_79:                               ;   in Loop: Header=BB0_27 Depth=1
	v_bfe_u32 v21, v37, 16, 1
	v_lshlrev_b64 v[34:35], 1, v[3:4]
	v_cmp_o_f32_e32 vcc_lo, v37, v37
	v_add3_u32 v21, v37, v21, 0x7fff
	v_cndmask_b32_sdwa v21, v16, v21, vcc_lo dst_sel:DWORD dst_unused:UNUSED_PAD src0_sel:DWORD src1_sel:WORD_1
	v_add_co_u32 v34, vcc_lo, s34, v34
	v_add_co_ci_u32_e64 v35, null, s35, v35, vcc_lo
	global_store_short v[34:35], v21, off
	s_or_b32 exec_lo, exec_lo, s5
	s_and_saveexec_b32 s5, s3
	s_cbranch_execz .LBB0_65
.LBB0_80:                               ;   in Loop: Header=BB0_27 Depth=1
	v_bfe_u32 v21, v32, 16, 1
	v_lshlrev_b64 v[34:35], 1, v[5:6]
	v_cmp_o_f32_e32 vcc_lo, v32, v32
	v_add3_u32 v21, v32, v21, 0x7fff
	v_cndmask_b32_sdwa v21, v16, v21, vcc_lo dst_sel:DWORD dst_unused:UNUSED_PAD src0_sel:DWORD src1_sel:WORD_1
	v_add_co_u32 v34, vcc_lo, s34, v34
	v_add_co_ci_u32_e64 v35, null, s35, v35, vcc_lo
	global_store_short v[34:35], v21, off
	s_or_b32 exec_lo, exec_lo, s5
	s_and_saveexec_b32 s5, s4
	s_cbranch_execz .LBB0_66
.LBB0_81:                               ;   in Loop: Header=BB0_27 Depth=1
	v_bfe_u32 v21, v30, 16, 1
	v_lshlrev_b64 v[34:35], 1, v[7:8]
	v_cmp_o_f32_e32 vcc_lo, v30, v30
	v_add3_u32 v21, v30, v21, 0x7fff
	v_cndmask_b32_sdwa v21, v16, v21, vcc_lo dst_sel:DWORD dst_unused:UNUSED_PAD src0_sel:DWORD src1_sel:WORD_1
	v_add_co_u32 v34, vcc_lo, s34, v34
	v_add_co_ci_u32_e64 v35, null, s35, v35, vcc_lo
	global_store_short v[34:35], v21, off
	s_or_b32 exec_lo, exec_lo, s5
	s_and_saveexec_b32 s5, s1
	s_cbranch_execz .LBB0_67
.LBB0_82:                               ;   in Loop: Header=BB0_27 Depth=1
	v_bfe_u32 v21, v31, 16, 1
	v_cmp_o_f32_e32 vcc_lo, v31, v31
	v_add3_u32 v21, v31, v21, 0x7fff
	v_lshlrev_b64 v[30:31], 1, v[1:2]
	v_cndmask_b32_sdwa v21, v16, v21, vcc_lo dst_sel:DWORD dst_unused:UNUSED_PAD src0_sel:DWORD src1_sel:WORD_1
	v_add_co_u32 v30, vcc_lo, s36, v30
	v_add_co_ci_u32_e64 v31, null, s37, v31, vcc_lo
	global_store_short v[30:31], v21, off
	s_or_b32 exec_lo, exec_lo, s5
	s_and_saveexec_b32 s5, s2
	s_cbranch_execz .LBB0_68
.LBB0_83:                               ;   in Loop: Header=BB0_27 Depth=1
	v_bfe_u32 v21, v33, 16, 1
	v_lshlrev_b64 v[30:31], 1, v[3:4]
	v_cmp_o_f32_e32 vcc_lo, v33, v33
	v_add3_u32 v21, v33, v21, 0x7fff
	v_cndmask_b32_sdwa v21, v16, v21, vcc_lo dst_sel:DWORD dst_unused:UNUSED_PAD src0_sel:DWORD src1_sel:WORD_1
	v_add_co_u32 v30, vcc_lo, s36, v30
	v_add_co_ci_u32_e64 v31, null, s37, v31, vcc_lo
	global_store_short v[30:31], v21, off
	s_or_b32 exec_lo, exec_lo, s5
	s_and_saveexec_b32 s5, s3
	s_cbranch_execz .LBB0_69
.LBB0_84:                               ;   in Loop: Header=BB0_27 Depth=1
	v_bfe_u32 v21, v29, 16, 1
	v_cmp_o_f32_e32 vcc_lo, v29, v29
	v_add3_u32 v21, v29, v21, 0x7fff
	v_lshlrev_b64 v[28:29], 1, v[5:6]
	v_cndmask_b32_sdwa v21, v16, v21, vcc_lo dst_sel:DWORD dst_unused:UNUSED_PAD src0_sel:DWORD src1_sel:WORD_1
	v_add_co_u32 v28, vcc_lo, s36, v28
	v_add_co_ci_u32_e64 v29, null, s37, v29, vcc_lo
	global_store_short v[28:29], v21, off
	s_or_b32 exec_lo, exec_lo, s5
	s_and_saveexec_b32 s5, s4
	s_cbranch_execz .LBB0_70
.LBB0_85:                               ;   in Loop: Header=BB0_27 Depth=1
	v_bfe_u32 v21, v27, 16, 1
	v_cmp_o_f32_e32 vcc_lo, v27, v27
	v_add3_u32 v21, v27, v21, 0x7fff
	v_lshlrev_b64 v[27:28], 1, v[7:8]
	v_cndmask_b32_sdwa v21, v16, v21, vcc_lo dst_sel:DWORD dst_unused:UNUSED_PAD src0_sel:DWORD src1_sel:WORD_1
	v_add_co_u32 v27, vcc_lo, s36, v27
	v_add_co_ci_u32_e64 v28, null, s37, v28, vcc_lo
	global_store_short v[27:28], v21, off
	s_or_b32 exec_lo, exec_lo, s5
	s_and_saveexec_b32 s5, s1
	s_cbranch_execz .LBB0_71
.LBB0_86:                               ;   in Loop: Header=BB0_27 Depth=1
	v_bfe_u32 v21, v23, 16, 1
	v_lshlrev_b64 v[27:28], 1, v[1:2]
	v_cmp_o_f32_e32 vcc_lo, v23, v23
	v_add3_u32 v21, v23, v21, 0x7fff
	v_cndmask_b32_sdwa v21, v16, v21, vcc_lo dst_sel:DWORD dst_unused:UNUSED_PAD src0_sel:DWORD src1_sel:WORD_1
	v_add_co_u32 v27, vcc_lo, s38, v27
	v_add_co_ci_u32_e64 v28, null, s39, v28, vcc_lo
	global_store_short v[27:28], v21, off
	s_or_b32 exec_lo, exec_lo, s5
	s_and_saveexec_b32 s5, s2
	s_cbranch_execz .LBB0_72
.LBB0_87:                               ;   in Loop: Header=BB0_27 Depth=1
	v_bfe_u32 v21, v26, 16, 1
	v_cmp_o_f32_e32 vcc_lo, v26, v26
	v_add3_u32 v21, v26, v21, 0x7fff
	v_lshlrev_b64 v[25:26], 1, v[3:4]
	v_cndmask_b32_sdwa v21, v16, v21, vcc_lo dst_sel:DWORD dst_unused:UNUSED_PAD src0_sel:DWORD src1_sel:WORD_1
	v_add_co_u32 v25, vcc_lo, s38, v25
	v_add_co_ci_u32_e64 v26, null, s39, v26, vcc_lo
	global_store_short v[25:26], v21, off
	s_or_b32 exec_lo, exec_lo, s5
	s_and_saveexec_b32 s5, s3
	s_cbranch_execz .LBB0_73
.LBB0_88:                               ;   in Loop: Header=BB0_27 Depth=1
	v_bfe_u32 v21, v24, 16, 1
	v_cmp_o_f32_e32 vcc_lo, v24, v24
	v_add3_u32 v21, v24, v21, 0x7fff
	v_lshlrev_b64 v[23:24], 1, v[5:6]
	v_cndmask_b32_sdwa v21, v16, v21, vcc_lo dst_sel:DWORD dst_unused:UNUSED_PAD src0_sel:DWORD src1_sel:WORD_1
	v_add_co_u32 v23, vcc_lo, s38, v23
	v_add_co_ci_u32_e64 v24, null, s39, v24, vcc_lo
	global_store_short v[23:24], v21, off
	s_or_b32 exec_lo, exec_lo, s5
	s_and_saveexec_b32 s5, s4
	s_cbranch_execz .LBB0_74
.LBB0_89:                               ;   in Loop: Header=BB0_27 Depth=1
	v_bfe_u32 v21, v22, 16, 1
	v_cmp_o_f32_e32 vcc_lo, v22, v22
	v_add3_u32 v23, v22, v21, 0x7fff
	v_lshlrev_b64 v[21:22], 1, v[7:8]
	v_cndmask_b32_sdwa v23, v16, v23, vcc_lo dst_sel:DWORD dst_unused:UNUSED_PAD src0_sel:DWORD src1_sel:WORD_1
	v_add_co_u32 v21, vcc_lo, s38, v21
	v_add_co_ci_u32_e64 v22, null, s39, v22, vcc_lo
	global_store_short v[21:22], v23, off
	s_or_b32 exec_lo, exec_lo, s5
	s_and_b32 vcc_lo, exec_lo, s21
	s_cbranch_vccz .LBB0_26
.LBB0_90:                               ;   in Loop: Header=BB0_27 Depth=1
	s_and_saveexec_b32 s5, s1
	s_cbranch_execnz .LBB0_94
; %bb.91:                               ;   in Loop: Header=BB0_27 Depth=1
	s_or_b32 exec_lo, exec_lo, s5
	s_and_saveexec_b32 s1, s2
	s_cbranch_execnz .LBB0_95
.LBB0_92:                               ;   in Loop: Header=BB0_27 Depth=1
	s_or_b32 exec_lo, exec_lo, s1
	s_and_saveexec_b32 s1, s3
	s_cbranch_execnz .LBB0_96
.LBB0_93:                               ;   in Loop: Header=BB0_27 Depth=1
	s_or_b32 exec_lo, exec_lo, s1
	s_and_saveexec_b32 s1, s4
	s_cbranch_execz .LBB0_25
	s_branch .LBB0_97
.LBB0_94:                               ;   in Loop: Header=BB0_27 Depth=1
	v_lshlrev_b64 v[1:2], 2, v[1:2]
	v_add_co_u32 v1, vcc_lo, s10, v1
	v_add_co_ci_u32_e64 v2, null, s11, v2, vcc_lo
	global_store_dword v[1:2], v17, off
	s_or_b32 exec_lo, exec_lo, s5
	s_and_saveexec_b32 s1, s2
	s_cbranch_execz .LBB0_92
.LBB0_95:                               ;   in Loop: Header=BB0_27 Depth=1
	v_lshlrev_b64 v[1:2], 2, v[3:4]
	v_add_co_u32 v1, vcc_lo, s10, v1
	v_add_co_ci_u32_e64 v2, null, s11, v2, vcc_lo
	global_store_dword v[1:2], v18, off
	s_or_b32 exec_lo, exec_lo, s1
	s_and_saveexec_b32 s1, s3
	s_cbranch_execz .LBB0_93
.LBB0_96:                               ;   in Loop: Header=BB0_27 Depth=1
	v_lshlrev_b64 v[1:2], 2, v[5:6]
	v_add_co_u32 v1, vcc_lo, s10, v1
	v_add_co_ci_u32_e64 v2, null, s11, v2, vcc_lo
	global_store_dword v[1:2], v19, off
	s_or_b32 exec_lo, exec_lo, s1
	s_and_saveexec_b32 s1, s4
	s_cbranch_execz .LBB0_25
.LBB0_97:                               ;   in Loop: Header=BB0_27 Depth=1
	v_lshlrev_b64 v[1:2], 2, v[7:8]
	v_add_co_u32 v1, vcc_lo, s10, v1
	v_add_co_ci_u32_e64 v2, null, s11, v2, vcc_lo
	global_store_dword v[1:2], v20, off
	s_branch .LBB0_25
.LBB0_98:
	s_endpgm
	.section	.rodata,"a",@progbits
	.p2align	6, 0x0
	.amdhsa_kernel _ZN2at6native12_GLOBAL__N_125multi_tensor_apply_kernelINS1_32FusedOptimizerTensorListMetadataILi5EEENS1_22FusedAdamMathFunctorMPIfffN3c108BFloat16ES7_S7_Li5ELNS0_9ADAM_MODEE0ELb1EEEJPKfdddddbSB_SB_EEEvT_T0_DpT1_
		.amdhsa_group_segment_fixed_size 0
		.amdhsa_private_segment_fixed_size 0
		.amdhsa_kernarg_size 3624
		.amdhsa_user_sgpr_count 6
		.amdhsa_user_sgpr_private_segment_buffer 1
		.amdhsa_user_sgpr_dispatch_ptr 0
		.amdhsa_user_sgpr_queue_ptr 0
		.amdhsa_user_sgpr_kernarg_segment_ptr 1
		.amdhsa_user_sgpr_dispatch_id 0
		.amdhsa_user_sgpr_flat_scratch_init 0
		.amdhsa_user_sgpr_private_segment_size 0
		.amdhsa_wavefront_size32 1
		.amdhsa_uses_dynamic_stack 0
		.amdhsa_system_sgpr_private_segment_wavefront_offset 0
		.amdhsa_system_sgpr_workgroup_id_x 1
		.amdhsa_system_sgpr_workgroup_id_y 0
		.amdhsa_system_sgpr_workgroup_id_z 0
		.amdhsa_system_sgpr_workgroup_info 0
		.amdhsa_system_vgpr_workitem_id 0
		.amdhsa_next_free_vgpr 50
		.amdhsa_next_free_sgpr 83
		.amdhsa_reserve_vcc 1
		.amdhsa_reserve_flat_scratch 0
		.amdhsa_float_round_mode_32 0
		.amdhsa_float_round_mode_16_64 0
		.amdhsa_float_denorm_mode_32 3
		.amdhsa_float_denorm_mode_16_64 3
		.amdhsa_dx10_clamp 1
		.amdhsa_ieee_mode 1
		.amdhsa_fp16_overflow 0
		.amdhsa_workgroup_processor_mode 1
		.amdhsa_memory_ordered 1
		.amdhsa_forward_progress 1
		.amdhsa_shared_vgpr_count 0
		.amdhsa_exception_fp_ieee_invalid_op 0
		.amdhsa_exception_fp_denorm_src 0
		.amdhsa_exception_fp_ieee_div_zero 0
		.amdhsa_exception_fp_ieee_overflow 0
		.amdhsa_exception_fp_ieee_underflow 0
		.amdhsa_exception_fp_ieee_inexact 0
		.amdhsa_exception_int_div_zero 0
	.end_amdhsa_kernel
	.section	.text._ZN2at6native12_GLOBAL__N_125multi_tensor_apply_kernelINS1_32FusedOptimizerTensorListMetadataILi5EEENS1_22FusedAdamMathFunctorMPIfffN3c108BFloat16ES7_S7_Li5ELNS0_9ADAM_MODEE0ELb1EEEJPKfdddddbSB_SB_EEEvT_T0_DpT1_,"axG",@progbits,_ZN2at6native12_GLOBAL__N_125multi_tensor_apply_kernelINS1_32FusedOptimizerTensorListMetadataILi5EEENS1_22FusedAdamMathFunctorMPIfffN3c108BFloat16ES7_S7_Li5ELNS0_9ADAM_MODEE0ELb1EEEJPKfdddddbSB_SB_EEEvT_T0_DpT1_,comdat
.Lfunc_end0:
	.size	_ZN2at6native12_GLOBAL__N_125multi_tensor_apply_kernelINS1_32FusedOptimizerTensorListMetadataILi5EEENS1_22FusedAdamMathFunctorMPIfffN3c108BFloat16ES7_S7_Li5ELNS0_9ADAM_MODEE0ELb1EEEJPKfdddddbSB_SB_EEEvT_T0_DpT1_, .Lfunc_end0-_ZN2at6native12_GLOBAL__N_125multi_tensor_apply_kernelINS1_32FusedOptimizerTensorListMetadataILi5EEENS1_22FusedAdamMathFunctorMPIfffN3c108BFloat16ES7_S7_Li5ELNS0_9ADAM_MODEE0ELb1EEEJPKfdddddbSB_SB_EEEvT_T0_DpT1_
                                        ; -- End function
	.set _ZN2at6native12_GLOBAL__N_125multi_tensor_apply_kernelINS1_32FusedOptimizerTensorListMetadataILi5EEENS1_22FusedAdamMathFunctorMPIfffN3c108BFloat16ES7_S7_Li5ELNS0_9ADAM_MODEE0ELb1EEEJPKfdddddbSB_SB_EEEvT_T0_DpT1_.num_vgpr, 50
	.set _ZN2at6native12_GLOBAL__N_125multi_tensor_apply_kernelINS1_32FusedOptimizerTensorListMetadataILi5EEENS1_22FusedAdamMathFunctorMPIfffN3c108BFloat16ES7_S7_Li5ELNS0_9ADAM_MODEE0ELb1EEEJPKfdddddbSB_SB_EEEvT_T0_DpT1_.num_agpr, 0
	.set _ZN2at6native12_GLOBAL__N_125multi_tensor_apply_kernelINS1_32FusedOptimizerTensorListMetadataILi5EEENS1_22FusedAdamMathFunctorMPIfffN3c108BFloat16ES7_S7_Li5ELNS0_9ADAM_MODEE0ELb1EEEJPKfdddddbSB_SB_EEEvT_T0_DpT1_.numbered_sgpr, 83
	.set _ZN2at6native12_GLOBAL__N_125multi_tensor_apply_kernelINS1_32FusedOptimizerTensorListMetadataILi5EEENS1_22FusedAdamMathFunctorMPIfffN3c108BFloat16ES7_S7_Li5ELNS0_9ADAM_MODEE0ELb1EEEJPKfdddddbSB_SB_EEEvT_T0_DpT1_.num_named_barrier, 0
	.set _ZN2at6native12_GLOBAL__N_125multi_tensor_apply_kernelINS1_32FusedOptimizerTensorListMetadataILi5EEENS1_22FusedAdamMathFunctorMPIfffN3c108BFloat16ES7_S7_Li5ELNS0_9ADAM_MODEE0ELb1EEEJPKfdddddbSB_SB_EEEvT_T0_DpT1_.private_seg_size, 0
	.set _ZN2at6native12_GLOBAL__N_125multi_tensor_apply_kernelINS1_32FusedOptimizerTensorListMetadataILi5EEENS1_22FusedAdamMathFunctorMPIfffN3c108BFloat16ES7_S7_Li5ELNS0_9ADAM_MODEE0ELb1EEEJPKfdddddbSB_SB_EEEvT_T0_DpT1_.uses_vcc, 1
	.set _ZN2at6native12_GLOBAL__N_125multi_tensor_apply_kernelINS1_32FusedOptimizerTensorListMetadataILi5EEENS1_22FusedAdamMathFunctorMPIfffN3c108BFloat16ES7_S7_Li5ELNS0_9ADAM_MODEE0ELb1EEEJPKfdddddbSB_SB_EEEvT_T0_DpT1_.uses_flat_scratch, 0
	.set _ZN2at6native12_GLOBAL__N_125multi_tensor_apply_kernelINS1_32FusedOptimizerTensorListMetadataILi5EEENS1_22FusedAdamMathFunctorMPIfffN3c108BFloat16ES7_S7_Li5ELNS0_9ADAM_MODEE0ELb1EEEJPKfdddddbSB_SB_EEEvT_T0_DpT1_.has_dyn_sized_stack, 0
	.set _ZN2at6native12_GLOBAL__N_125multi_tensor_apply_kernelINS1_32FusedOptimizerTensorListMetadataILi5EEENS1_22FusedAdamMathFunctorMPIfffN3c108BFloat16ES7_S7_Li5ELNS0_9ADAM_MODEE0ELb1EEEJPKfdddddbSB_SB_EEEvT_T0_DpT1_.has_recursion, 0
	.set _ZN2at6native12_GLOBAL__N_125multi_tensor_apply_kernelINS1_32FusedOptimizerTensorListMetadataILi5EEENS1_22FusedAdamMathFunctorMPIfffN3c108BFloat16ES7_S7_Li5ELNS0_9ADAM_MODEE0ELb1EEEJPKfdddddbSB_SB_EEEvT_T0_DpT1_.has_indirect_call, 0
	.section	.AMDGPU.csdata,"",@progbits
; Kernel info:
; codeLenInByte = 11280
; TotalNumSgprs: 85
; NumVgprs: 50
; ScratchSize: 0
; MemoryBound: 0
; FloatMode: 240
; IeeeMode: 1
; LDSByteSize: 0 bytes/workgroup (compile time only)
; SGPRBlocks: 0
; VGPRBlocks: 6
; NumSGPRsForWavesPerEU: 85
; NumVGPRsForWavesPerEU: 50
; Occupancy: 16
; WaveLimiterHint : 0
; COMPUTE_PGM_RSRC2:SCRATCH_EN: 0
; COMPUTE_PGM_RSRC2:USER_SGPR: 6
; COMPUTE_PGM_RSRC2:TRAP_HANDLER: 0
; COMPUTE_PGM_RSRC2:TGID_X_EN: 1
; COMPUTE_PGM_RSRC2:TGID_Y_EN: 0
; COMPUTE_PGM_RSRC2:TGID_Z_EN: 0
; COMPUTE_PGM_RSRC2:TIDIG_COMP_CNT: 0
	.section	.text._ZN2at6native12_GLOBAL__N_125multi_tensor_apply_kernelINS1_32FusedOptimizerTensorListMetadataILi5EEENS1_20FusedAdamMathFunctorIdLi5ELNS0_9ADAM_MODEE0ELb1EEEJPKfdddddbS9_S9_EEEvT_T0_DpT1_,"axG",@progbits,_ZN2at6native12_GLOBAL__N_125multi_tensor_apply_kernelINS1_32FusedOptimizerTensorListMetadataILi5EEENS1_20FusedAdamMathFunctorIdLi5ELNS0_9ADAM_MODEE0ELb1EEEJPKfdddddbS9_S9_EEEvT_T0_DpT1_,comdat
	.globl	_ZN2at6native12_GLOBAL__N_125multi_tensor_apply_kernelINS1_32FusedOptimizerTensorListMetadataILi5EEENS1_20FusedAdamMathFunctorIdLi5ELNS0_9ADAM_MODEE0ELb1EEEJPKfdddddbS9_S9_EEEvT_T0_DpT1_ ; -- Begin function _ZN2at6native12_GLOBAL__N_125multi_tensor_apply_kernelINS1_32FusedOptimizerTensorListMetadataILi5EEENS1_20FusedAdamMathFunctorIdLi5ELNS0_9ADAM_MODEE0ELb1EEEJPKfdddddbS9_S9_EEEvT_T0_DpT1_
	.p2align	8
	.type	_ZN2at6native12_GLOBAL__N_125multi_tensor_apply_kernelINS1_32FusedOptimizerTensorListMetadataILi5EEENS1_20FusedAdamMathFunctorIdLi5ELNS0_9ADAM_MODEE0ELb1EEEJPKfdddddbS9_S9_EEEvT_T0_DpT1_,@function
_ZN2at6native12_GLOBAL__N_125multi_tensor_apply_kernelINS1_32FusedOptimizerTensorListMetadataILi5EEENS1_20FusedAdamMathFunctorIdLi5ELNS0_9ADAM_MODEE0ELb1EEEJPKfdddddbS9_S9_EEEvT_T0_DpT1_: ; @_ZN2at6native12_GLOBAL__N_125multi_tensor_apply_kernelINS1_32FusedOptimizerTensorListMetadataILi5EEENS1_20FusedAdamMathFunctorIdLi5ELNS0_9ADAM_MODEE0ELb1EEEJPKfdddddbS9_S9_EEEvT_T0_DpT1_
; %bb.0:
	v_mov_b32_e32 v1, s6
	s_load_dwordx8 s[8:15], s[4:5], 0xce0
	s_add_u32 s0, s4, s6
	s_mul_hi_u32 s2, s6, 3
	s_mul_i32 s6, s6, 3
	global_load_ubyte v1, v1, s[4:5] offset:1680
	s_addc_u32 s3, s5, 0
	s_add_u32 s6, s0, s6
	s_addc_u32 s7, s3, s2
	s_waitcnt lgkmcnt(0)
	v_mov_b32_e32 v42, s11
	v_mov_b32_e32 v41, s10
	s_cmp_eq_u64 s[8:9], 0
	s_waitcnt vmcnt(0)
	v_readfirstlane_b32 s1, v1
	s_cbranch_scc1 .LBB1_2
; %bb.1:
	s_load_dword s0, s[8:9], 0x0
	s_waitcnt lgkmcnt(0)
	v_cvt_f64_f32_e32 v[41:42], s0
.LBB1_2:
	s_load_dwordx4 s[8:11], s[4:5], 0xd18
	s_waitcnt lgkmcnt(0)
	s_cmp_eq_u64 s[10:11], 0
	s_cselect_b32 s0, -1, 0
	s_and_b32 vcc_lo, exec_lo, s0
	s_cbranch_vccnz .LBB1_4
; %bb.3:
	s_load_dword s0, s[10:11], 0x0
	s_waitcnt lgkmcnt(0)
	v_cmp_neq_f32_e64 s0, s0, 1.0
.LBB1_4:
	s_andn2_b32 vcc_lo, exec_lo, s0
	s_cbranch_vccnz .LBB1_98
; %bb.5:
	s_load_dword s0, s[4:5], 0xd10
	v_cmp_neq_f64_e64 vcc_lo, s[12:13], 1.0
	s_mov_b32 s10, 0x55555555
	s_mov_b32 s11, 0x3fe55555
	;; [unrolled: 1-line block ×18, first 2 shown]
	s_waitcnt lgkmcnt(0)
	s_bitcmp1_b32 s0, 0
	s_mov_b32 s38, 0x9999999c
	s_cselect_b32 s0, -1, 0
	s_and_b32 s1, s1, 0xff
	s_mov_b32 s39, 0x3fd99999
	s_lshl_b32 s33, s1, 3
	s_clause 0x1
	s_load_dwordx2 s[2:3], s[4:5], s33 offset:0x5a0
	s_load_dwordx2 s[28:29], s[4:5], s33 offset:0x4b0
	s_mov_b32 s41, 0xbfe55555
	s_mov_b32 s40, s10
	;; [unrolled: 1-line block ×18, first 2 shown]
	s_waitcnt lgkmcnt(0)
	s_load_dword s1, s[2:3], 0x0
	s_mov_b32 s58, 0x623fde64
	s_mov_b32 s59, 0x3ec71dee
	;; [unrolled: 1-line block ×16, first 2 shown]
	s_waitcnt lgkmcnt(0)
	v_cvt_f64_f32_e32 v[3:4], s1
	v_cndmask_b32_e32 v2, 0x3ff00000, v4, vcc_lo
	v_cndmask_b32_e32 v1, 0, v3, vcc_lo
	v_cmp_neq_f64_e32 vcc_lo, 0, v[1:2]
	v_cmp_neq_f64_e64 s74, v[1:2], |v[1:2]|
	s_and_b32 s1, vcc_lo, exec_lo
	s_cselect_b32 s17, s13, 0x3ff00000
	s_cselect_b32 s16, s12, 0
	v_frexp_mant_f64_e64 v[5:6], |s[16:17]|
	v_cmp_lt_f64_e64 s75, |s[16:17]|, 1.0
	v_cmp_neq_f64_e64 s76, |s[16:17]|, 1.0
	v_cmp_eq_f64_e64 s77, s[16:17], 0
	v_cmp_class_f64_e64 s78, s[16:17], 0x204
	v_cmp_gt_f64_e32 vcc_lo, s[10:11], v[5:6]
	v_cndmask_b32_e64 v7, 0, 1, vcc_lo
	v_ldexp_f64 v[5:6], v[5:6], v7
	v_add_f64 v[7:8], v[5:6], 1.0
	v_add_f64 v[13:14], v[5:6], -1.0
	v_rcp_f64_e32 v[9:10], v[7:8]
	v_add_f64 v[15:16], v[7:8], -1.0
	v_add_f64 v[5:6], v[5:6], -v[15:16]
	v_fma_f64 v[11:12], -v[7:8], v[9:10], 1.0
	v_fma_f64 v[9:10], v[11:12], v[9:10], v[9:10]
	v_fma_f64 v[11:12], -v[7:8], v[9:10], 1.0
	v_fma_f64 v[9:10], v[11:12], v[9:10], v[9:10]
	v_mul_f64 v[11:12], v[13:14], v[9:10]
	v_mul_f64 v[17:18], v[7:8], v[11:12]
	v_fma_f64 v[7:8], v[11:12], v[7:8], -v[17:18]
	v_fma_f64 v[5:6], v[11:12], v[5:6], v[7:8]
	v_add_f64 v[7:8], v[17:18], v[5:6]
	v_add_f64 v[15:16], v[13:14], -v[7:8]
	v_add_f64 v[17:18], v[7:8], -v[17:18]
	;; [unrolled: 1-line block ×5, first 2 shown]
	v_add_f64 v[5:6], v[5:6], v[7:8]
	v_add_f64 v[5:6], v[15:16], v[5:6]
	v_mul_f64 v[5:6], v[9:10], v[5:6]
	v_add_f64 v[7:8], v[11:12], v[5:6]
	v_add_f64 v[9:10], v[7:8], -v[11:12]
	v_mul_f64 v[11:12], v[7:8], v[7:8]
	v_add_f64 v[5:6], v[5:6], -v[9:10]
	v_fma_f64 v[9:10], v[7:8], v[7:8], -v[11:12]
	v_add_f64 v[13:14], v[5:6], v[5:6]
	v_fma_f64 v[9:10], v[7:8], v[13:14], v[9:10]
	v_add_f64 v[13:14], v[11:12], v[9:10]
	v_fma_f64 v[15:16], v[13:14], s[20:21], s[18:19]
	v_add_f64 v[11:12], v[13:14], -v[11:12]
	v_mul_f64 v[21:22], v[7:8], v[13:14]
	v_fma_f64 v[15:16], v[13:14], v[15:16], s[22:23]
	v_add_f64 v[9:10], v[9:10], -v[11:12]
	v_fma_f64 v[15:16], v[13:14], v[15:16], s[24:25]
	v_fma_f64 v[15:16], v[13:14], v[15:16], s[26:27]
	;; [unrolled: 1-line block ×6, first 2 shown]
	v_mul_f64 v[17:18], v[13:14], v[15:16]
	v_fma_f64 v[11:12], v[13:14], v[15:16], -v[17:18]
	v_fma_f64 v[11:12], v[9:10], v[15:16], v[11:12]
	v_add_f64 v[15:16], v[17:18], v[11:12]
	v_add_f64 v[19:20], v[15:16], s[10:11]
	v_add_f64 v[17:18], v[15:16], -v[17:18]
	v_add_f64 v[23:24], v[19:20], s[40:41]
	v_add_f64 v[11:12], v[11:12], -v[17:18]
	v_fma_f64 v[17:18], v[13:14], v[7:8], -v[21:22]
	v_add_f64 v[15:16], v[15:16], -v[23:24]
	v_add_f64 v[11:12], v[11:12], s[44:45]
	v_fma_f64 v[13:14], v[13:14], v[5:6], v[17:18]
	v_ldexp_f64 v[5:6], v[5:6], 1
	v_add_f64 v[11:12], v[11:12], v[15:16]
	v_fma_f64 v[9:10], v[9:10], v[7:8], v[13:14]
	v_ldexp_f64 v[7:8], v[7:8], 1
	v_add_f64 v[13:14], v[19:20], v[11:12]
	v_add_f64 v[15:16], v[21:22], v[9:10]
	v_add_f64 v[17:18], v[19:20], -v[13:14]
	v_mul_f64 v[19:20], v[15:16], v[13:14]
	v_add_f64 v[21:22], v[15:16], -v[21:22]
	v_add_f64 v[11:12], v[11:12], v[17:18]
	v_fma_f64 v[17:18], v[15:16], v[13:14], -v[19:20]
	v_add_f64 v[9:10], v[9:10], -v[21:22]
	v_fma_f64 v[11:12], v[15:16], v[11:12], v[17:18]
	v_fma_f64 v[9:10], v[9:10], v[13:14], v[11:12]
	v_frexp_exp_i32_f64_e32 v13, s[16:17]
	v_add_f64 v[11:12], v[19:20], v[9:10]
	v_subrev_co_ci_u32_e64 v13, null, 0, v13, vcc_lo
	v_cvt_f64_i32_e32 v[13:14], v13
	v_add_f64 v[15:16], v[7:8], v[11:12]
	v_add_f64 v[17:18], v[11:12], -v[19:20]
	v_mul_f64 v[19:20], v[13:14], s[42:43]
	v_add_f64 v[7:8], v[15:16], -v[7:8]
	v_add_f64 v[9:10], v[9:10], -v[17:18]
	v_fma_f64 v[17:18], v[13:14], s[42:43], -v[19:20]
	v_add_f64 v[7:8], v[11:12], -v[7:8]
	v_add_f64 v[5:6], v[5:6], v[9:10]
	v_fma_f64 v[9:10], v[13:14], s[46:47], v[17:18]
	v_add_f64 v[5:6], v[5:6], v[7:8]
	v_add_f64 v[7:8], v[19:20], v[9:10]
	;; [unrolled: 1-line block ×3, first 2 shown]
	v_add_f64 v[19:20], v[7:8], -v[19:20]
	v_add_f64 v[13:14], v[7:8], v[11:12]
	v_add_f64 v[15:16], v[11:12], -v[15:16]
	v_add_f64 v[9:10], v[9:10], -v[19:20]
	;; [unrolled: 1-line block ×6, first 2 shown]
	v_add_f64 v[15:16], v[9:10], v[5:6]
	v_add_f64 v[7:8], v[7:8], -v[21:22]
	v_add_f64 v[7:8], v[11:12], v[7:8]
	v_add_f64 v[11:12], v[15:16], -v[9:10]
	;; [unrolled: 2-line block ×3, first 2 shown]
	v_add_f64 v[5:6], v[5:6], -v[11:12]
	v_add_f64 v[17:18], v[13:14], v[7:8]
	v_add_f64 v[9:10], v[9:10], -v[15:16]
	v_add_f64 v[11:12], v[17:18], -v[13:14]
	v_add_f64 v[5:6], v[5:6], v[9:10]
	v_add_f64 v[7:8], v[7:8], -v[11:12]
	v_add_f64 v[5:6], v[5:6], v[7:8]
	v_add_f64 v[7:8], v[17:18], v[5:6]
	v_add_f64 v[9:10], v[7:8], -v[17:18]
	v_mul_f64 v[11:12], v[1:2], v[7:8]
	v_add_f64 v[5:6], v[5:6], -v[9:10]
	v_fma_f64 v[7:8], v[1:2], v[7:8], -v[11:12]
	v_cmp_class_f64_e64 vcc_lo, v[11:12], 0x204
	v_fma_f64 v[5:6], v[1:2], v[5:6], v[7:8]
	v_add_f64 v[7:8], v[11:12], v[5:6]
	v_cndmask_b32_e32 v10, v8, v12, vcc_lo
	v_cndmask_b32_e32 v9, v7, v11, vcc_lo
	v_add_f64 v[7:8], v[7:8], -v[11:12]
	v_mul_f64 v[13:14], v[9:10], s[48:49]
	v_cmp_nlt_f64_e64 s1, 0x40900000, v[9:10]
	v_cmp_neq_f64_e64 vcc_lo, 0x7ff00000, |v[9:10]|
	v_cmp_ngt_f64_e64 s2, 0xc090cc00, v[9:10]
	v_add_f64 v[5:6], v[5:6], -v[7:8]
	v_trunc_f64_e32 v[7:8], v[1:2]
	v_rndne_f64_e32 v[13:14], v[13:14]
	v_cndmask_b32_e32 v6, 0, v6, vcc_lo
	v_cndmask_b32_e32 v5, 0, v5, vcc_lo
	s_and_b32 vcc_lo, s2, s1
	v_fma_f64 v[15:16], v[13:14], s[50:51], v[9:10]
	v_cvt_i32_f64_e32 v19, v[13:14]
	v_fma_f64 v[15:16], v[13:14], s[52:53], v[15:16]
	v_fma_f64 v[17:18], v[15:16], s[56:57], s[54:55]
	;; [unrolled: 1-line block ×10, first 2 shown]
	v_fma_f64 v[17:18], v[15:16], v[17:18], 1.0
	v_fma_f64 v[13:14], v[15:16], v[17:18], 1.0
	v_ldexp_f64 v[11:12], v[13:14], v19
	v_mul_f64 v[13:14], v[1:2], 0.5
	v_cndmask_b32_e64 v12, 0x7ff00000, v12, s1
	v_trunc_f64_e32 v[9:10], v[13:14]
	v_cndmask_b32_e32 v11, 0, v11, vcc_lo
	v_cmp_eq_f64_e32 vcc_lo, v[7:8], v[1:2]
	v_cndmask_b32_e64 v12, 0, v12, s2
	v_fma_f64 v[5:6], v[11:12], v[5:6], v[11:12]
	v_cmp_class_f64_e64 s2, v[11:12], 0x204
	v_cmp_neq_f64_e64 s1, v[9:10], v[13:14]
	v_cndmask_b32_e64 v6, v6, v12, s2
	v_cndmask_b32_e64 v5, v5, v11, s2
	v_cmp_gt_f64_e64 s2, 0, v[1:2]
	v_cndmask_b32_e32 v8, 0, v5, vcc_lo
	s_and_b32 s3, vcc_lo, s1
	s_and_b32 s1, s3, exec_lo
	s_cselect_b32 s1, s17, 0x3ff00000
	s_xor_b32 s74, s74, s75
	v_bfi_b32 v6, 0x7fffffff, v6, s1
	v_cmp_neq_f64_e64 s1, s[14:15], 1.0
	v_cndmask_b32_e32 v7, 0x7ff80000, v6, vcc_lo
	v_cmp_lt_f64_e64 vcc_lo, s[16:17], 0
	v_cndmask_b32_e64 v4, 0x3ff00000, v4, s1
	v_cndmask_b32_e64 v3, 0, v3, s1
	s_and_b32 s1, s74, exec_lo
	s_cselect_b32 s1, 0, 0x7ff00000
	s_and_b32 s74, s76, exec_lo
	v_cmp_class_f64_e64 s74, v[1:2], 0x204
	v_cndmask_b32_e32 v26, v5, v8, vcc_lo
	v_cndmask_b32_e32 v5, v6, v7, vcc_lo
	v_cmp_neq_f64_e32 vcc_lo, 0, v[3:4]
	s_cselect_b32 s1, s1, 0x3ff00000
	s_xor_b32 s2, s2, s77
	v_cndmask_b32_e64 v5, v5, s1, s74
	s_or_b32 s1, s77, s78
	s_and_b32 s2, s2, exec_lo
	s_cselect_b32 s2, 0, 0x7ff00000
	s_and_b32 s3, s3, exec_lo
	s_cselect_b32 s3, s17, 0
	v_mov_b32_e32 v6, s3
	s_or_b32 s3, s1, s74
	v_bfi_b32 v6, 0x7fffffff, s2, v6
	v_cndmask_b32_e64 v5, v5, v6, s1
	s_and_b32 s1, vcc_lo, exec_lo
	s_cselect_b32 s75, s15, 0x3ff00000
	s_cselect_b32 s74, s14, 0
	v_frexp_mant_f64_e64 v[6:7], |s[74:75]|
	v_cmp_gt_f64_e32 vcc_lo, s[10:11], v[6:7]
	v_cndmask_b32_e64 v8, 0, 1, vcc_lo
	v_ldexp_f64 v[6:7], v[6:7], v8
	v_add_f64 v[8:9], v[6:7], 1.0
	v_add_f64 v[14:15], v[6:7], -1.0
	v_rcp_f64_e32 v[10:11], v[8:9]
	v_add_f64 v[16:17], v[8:9], -1.0
	v_add_f64 v[6:7], v[6:7], -v[16:17]
	v_fma_f64 v[12:13], -v[8:9], v[10:11], 1.0
	v_fma_f64 v[10:11], v[12:13], v[10:11], v[10:11]
	v_fma_f64 v[12:13], -v[8:9], v[10:11], 1.0
	v_fma_f64 v[10:11], v[12:13], v[10:11], v[10:11]
	v_mul_f64 v[12:13], v[14:15], v[10:11]
	v_mul_f64 v[18:19], v[8:9], v[12:13]
	v_fma_f64 v[8:9], v[12:13], v[8:9], -v[18:19]
	v_fma_f64 v[6:7], v[12:13], v[6:7], v[8:9]
	v_add_f64 v[8:9], v[18:19], v[6:7]
	v_add_f64 v[16:17], v[14:15], -v[8:9]
	v_add_f64 v[18:19], v[8:9], -v[18:19]
	;; [unrolled: 1-line block ×5, first 2 shown]
	v_add_f64 v[6:7], v[6:7], v[8:9]
	v_add_f64 v[6:7], v[16:17], v[6:7]
	v_mul_f64 v[6:7], v[10:11], v[6:7]
	v_add_f64 v[8:9], v[12:13], v[6:7]
	v_add_f64 v[10:11], v[8:9], -v[12:13]
	v_mul_f64 v[12:13], v[8:9], v[8:9]
	v_add_f64 v[6:7], v[6:7], -v[10:11]
	v_fma_f64 v[10:11], v[8:9], v[8:9], -v[12:13]
	v_add_f64 v[14:15], v[6:7], v[6:7]
	v_fma_f64 v[10:11], v[8:9], v[14:15], v[10:11]
	v_add_f64 v[14:15], v[12:13], v[10:11]
	v_fma_f64 v[16:17], v[14:15], s[20:21], s[18:19]
	v_add_f64 v[12:13], v[14:15], -v[12:13]
	v_mul_f64 v[22:23], v[8:9], v[14:15]
	v_cmp_neq_f64_e64 s18, |s[74:75]|, 1.0
	v_cmp_eq_f64_e64 s19, s[74:75], 0
	v_cmp_class_f64_e64 s20, s[74:75], 0x204
	v_fma_f64 v[16:17], v[14:15], v[16:17], s[22:23]
	v_add_f64 v[10:11], v[10:11], -v[12:13]
	v_fma_f64 v[16:17], v[14:15], v[16:17], s[24:25]
	v_fma_f64 v[16:17], v[14:15], v[16:17], s[26:27]
	;; [unrolled: 1-line block ×6, first 2 shown]
	v_mul_f64 v[18:19], v[14:15], v[16:17]
	v_fma_f64 v[12:13], v[14:15], v[16:17], -v[18:19]
	v_fma_f64 v[12:13], v[10:11], v[16:17], v[12:13]
	v_add_f64 v[16:17], v[18:19], v[12:13]
	v_add_f64 v[20:21], v[16:17], s[10:11]
	v_add_f64 v[18:19], v[16:17], -v[18:19]
	v_cmp_lt_f64_e64 s11, |s[74:75]|, 1.0
	v_add_f64 v[24:25], v[20:21], s[40:41]
	v_add_f64 v[12:13], v[12:13], -v[18:19]
	v_fma_f64 v[18:19], v[14:15], v[8:9], -v[22:23]
	v_add_f64 v[16:17], v[16:17], -v[24:25]
	v_add_f64 v[12:13], v[12:13], s[44:45]
	v_fma_f64 v[14:15], v[14:15], v[6:7], v[18:19]
	v_ldexp_f64 v[6:7], v[6:7], 1
	s_mov_b32 s45, 0
	s_mov_b32 s41, s45
	v_add_f64 v[12:13], v[12:13], v[16:17]
	v_fma_f64 v[10:11], v[10:11], v[8:9], v[14:15]
	v_ldexp_f64 v[8:9], v[8:9], 1
	v_add_f64 v[14:15], v[20:21], v[12:13]
	v_add_f64 v[16:17], v[22:23], v[10:11]
	v_add_f64 v[18:19], v[20:21], -v[14:15]
	v_mul_f64 v[20:21], v[16:17], v[14:15]
	v_add_f64 v[22:23], v[16:17], -v[22:23]
	v_add_f64 v[12:13], v[12:13], v[18:19]
	v_fma_f64 v[18:19], v[16:17], v[14:15], -v[20:21]
	v_add_f64 v[10:11], v[10:11], -v[22:23]
	v_fma_f64 v[12:13], v[16:17], v[12:13], v[18:19]
	v_fma_f64 v[10:11], v[10:11], v[14:15], v[12:13]
	v_frexp_exp_i32_f64_e32 v14, s[74:75]
	v_add_f64 v[12:13], v[20:21], v[10:11]
	v_subrev_co_ci_u32_e64 v14, null, 0, v14, vcc_lo
	v_cvt_f64_i32_e32 v[14:15], v14
	v_add_f64 v[16:17], v[8:9], v[12:13]
	v_add_f64 v[18:19], v[12:13], -v[20:21]
	v_mul_f64 v[20:21], v[14:15], s[42:43]
	v_add_f64 v[8:9], v[16:17], -v[8:9]
	v_add_f64 v[10:11], v[10:11], -v[18:19]
	v_fma_f64 v[18:19], v[14:15], s[42:43], -v[20:21]
	v_add_f64 v[8:9], v[12:13], -v[8:9]
	v_add_f64 v[6:7], v[6:7], v[10:11]
	v_fma_f64 v[10:11], v[14:15], s[46:47], v[18:19]
	v_add_f64 v[6:7], v[6:7], v[8:9]
	v_add_f64 v[8:9], v[20:21], v[10:11]
	;; [unrolled: 1-line block ×3, first 2 shown]
	v_add_f64 v[20:21], v[8:9], -v[20:21]
	v_add_f64 v[14:15], v[8:9], v[12:13]
	v_add_f64 v[16:17], v[12:13], -v[16:17]
	v_add_f64 v[10:11], v[10:11], -v[20:21]
	;; [unrolled: 1-line block ×6, first 2 shown]
	v_add_f64 v[16:17], v[10:11], v[6:7]
	v_add_f64 v[8:9], v[8:9], -v[22:23]
	v_add_f64 v[8:9], v[12:13], v[8:9]
	v_add_f64 v[12:13], v[16:17], -v[10:11]
	;; [unrolled: 2-line block ×3, first 2 shown]
	v_add_f64 v[6:7], v[6:7], -v[12:13]
	v_add_f64 v[18:19], v[14:15], v[8:9]
	v_add_f64 v[10:11], v[10:11], -v[16:17]
	v_add_f64 v[12:13], v[18:19], -v[14:15]
	v_add_f64 v[6:7], v[6:7], v[10:11]
	v_add_f64 v[8:9], v[8:9], -v[12:13]
	v_add_f64 v[6:7], v[6:7], v[8:9]
	v_add_f64 v[8:9], v[18:19], v[6:7]
	v_add_f64 v[10:11], v[8:9], -v[18:19]
	v_mul_f64 v[12:13], v[3:4], v[8:9]
	v_add_f64 v[6:7], v[6:7], -v[10:11]
	v_fma_f64 v[8:9], v[3:4], v[8:9], -v[12:13]
	v_cmp_class_f64_e64 vcc_lo, v[12:13], 0x204
	v_fma_f64 v[6:7], v[3:4], v[6:7], v[8:9]
	v_add_f64 v[8:9], v[12:13], v[6:7]
	v_cndmask_b32_e32 v11, v9, v13, vcc_lo
	v_cndmask_b32_e32 v10, v8, v12, vcc_lo
	v_add_f64 v[8:9], v[8:9], -v[12:13]
	v_mul_f64 v[14:15], v[10:11], s[48:49]
	v_cmp_nlt_f64_e64 s1, 0x40900000, v[10:11]
	v_cmp_neq_f64_e64 vcc_lo, 0x7ff00000, |v[10:11]|
	v_cmp_ngt_f64_e64 s2, 0xc090cc00, v[10:11]
	v_add_f64 v[6:7], v[6:7], -v[8:9]
	v_trunc_f64_e32 v[8:9], v[3:4]
	v_rndne_f64_e32 v[14:15], v[14:15]
	v_cndmask_b32_e32 v7, 0, v7, vcc_lo
	v_cndmask_b32_e32 v6, 0, v6, vcc_lo
	s_and_b32 vcc_lo, s2, s1
	v_fma_f64 v[16:17], v[14:15], s[50:51], v[10:11]
	v_cvt_i32_f64_e32 v20, v[14:15]
	v_fma_f64 v[16:17], v[14:15], s[52:53], v[16:17]
	v_fma_f64 v[18:19], v[16:17], s[56:57], s[54:55]
	;; [unrolled: 1-line block ×10, first 2 shown]
	v_fma_f64 v[18:19], v[16:17], v[18:19], 1.0
	v_fma_f64 v[14:15], v[16:17], v[18:19], 1.0
	v_ldexp_f64 v[12:13], v[14:15], v20
	v_mul_f64 v[14:15], v[3:4], 0.5
	v_cndmask_b32_e64 v13, 0x7ff00000, v13, s1
	v_trunc_f64_e32 v[10:11], v[14:15]
	v_cndmask_b32_e32 v12, 0, v12, vcc_lo
	v_cmp_eq_f64_e32 vcc_lo, v[8:9], v[3:4]
	v_cndmask_b32_e64 v13, 0, v13, s2
	v_fma_f64 v[6:7], v[12:13], v[6:7], v[12:13]
	v_cmp_class_f64_e64 s2, v[12:13], 0x204
	v_cmp_neq_f64_e64 s1, v[10:11], v[14:15]
	v_cndmask_b32_e64 v6, v6, v12, s2
	v_cndmask_b32_e64 v7, v7, v13, s2
	v_cmp_neq_f64_e64 s2, v[3:4], |v[3:4]|
	v_cndmask_b32_e32 v9, 0, v6, vcc_lo
	s_and_b32 s10, vcc_lo, s1
	s_and_b32 s1, s10, exec_lo
	s_cselect_b32 s1, s75, 0x3ff00000
	v_bfi_b32 v7, 0x7fffffff, v7, s1
	v_cmp_gt_f64_e64 s1, 0, v[3:4]
	v_cndmask_b32_e32 v8, 0x7ff80000, v7, vcc_lo
	v_cmp_lt_f64_e64 vcc_lo, s[74:75], 0
	s_xor_b32 s2, s2, s11
	s_and_b32 s2, s2, exec_lo
	s_cselect_b32 s2, 0, 0x7ff00000
	s_and_b32 s11, s18, exec_lo
	v_cmp_class_f64_e64 s11, v[3:4], 0x204
	s_cselect_b32 s2, s2, 0x3ff00000
	s_xor_b32 s1, s1, s19
	v_cndmask_b32_e32 v7, v7, v8, vcc_lo
	v_cndmask_b32_e32 v6, v6, v9, vcc_lo
	s_or_b32 vcc_lo, s19, s20
	s_and_b32 s1, s1, exec_lo
	s_cselect_b32 s1, 0, 0x7ff00000
	v_cndmask_b32_e64 v7, v7, s2, s11
	s_and_b32 s2, s10, exec_lo
	s_cselect_b32 s2, s75, 0
	v_mov_b32_e32 v8, s2
	v_bfi_b32 v8, 0x7fffffff, s1, v8
	s_or_b32 s1, vcc_lo, s11
	s_clause 0x1
	s_load_dword s6, s[6:7], 0x7d0
	s_load_dwordx2 s[10:11], s[4:5], s33 offset:0x0
	v_cndmask_b32_e64 v6, v6, 0, s1
	s_clause 0x3
	s_load_dwordx2 s[20:21], s[4:5], s33 offset:0xf0
	s_load_dwordx2 s[22:23], s[4:5], s33 offset:0x1e0
	;; [unrolled: 1-line block ×4, first 2 shown]
	v_cndmask_b32_e32 v7, v7, v8, vcc_lo
	v_cmp_o_f64_e32 vcc_lo, s[74:75], v[3:4]
	v_add_f64 v[6:7], -v[6:7], 1.0
	v_cndmask_b32_e32 v4, 0x7ff80000, v7, vcc_lo
	v_cndmask_b32_e32 v3, 0, v6, vcc_lo
	v_cmp_gt_f64_e32 vcc_lo, 0x10000000, v[3:4]
	s_and_b32 s1, vcc_lo, exec_lo
	s_cselect_b32 s1, 0x100, 0
	v_cmp_o_f64_e32 vcc_lo, s[16:17], v[1:2]
	v_ldexp_f64 v[6:7], v[3:4], s1
	s_cselect_b32 s1, 0xffffff80, 0
	s_waitcnt lgkmcnt(0)
	s_ashr_i32 s7, s6, 31
	s_lshl_b64 s[18:19], s[6:7], 16
	s_sub_u32 s30, s28, s18
	s_subb_u32 s31, s29, s19
	s_lshl_b64 s[6:7], s[6:7], 19
	s_mov_b32 s19, s45
	s_add_u32 s33, s10, s6
	s_addc_u32 s34, s11, s7
	s_and_b32 s44, s33, 31
	s_add_u32 s35, s20, s6
	s_addc_u32 s36, s21, s7
	s_and_b32 s18, s35, 31
	s_cmp_lg_u64 s[18:19], 0
	s_load_dwordx4 s[16:19], s[4:5], 0xd00
	s_cselect_b32 s29, -1, 0
	s_add_u32 s37, s22, s6
	s_addc_u32 s38, s23, s7
	v_rsq_f64_e32 v[3:4], v[6:7]
	s_and_b32 s40, s37, 31
	s_cmp_lg_u64 s[40:41], 0
	s_cselect_b32 s43, -1, 0
	s_add_u32 s39, s24, s6
	s_addc_u32 s40, s25, s7
	s_add_u32 s41, s26, s6
	s_addc_u32 s42, s27, s7
	s_or_b32 s2, s41, s39
	s_and_b32 s2, s2, 31
	s_cmp_lg_u32 s2, 0
	s_cselect_b32 s46, -1, 0
	s_and_b32 s2, s28, 3
	s_or_b32 s28, s46, s43
	s_or_b32 s28, s28, s29
	v_mul_f64 v[8:9], v[6:7], v[3:4]
	v_mul_f64 v[3:4], v[3:4], 0.5
	v_fma_f64 v[10:11], -v[3:4], v[8:9], 0.5
	v_fma_f64 v[8:9], v[8:9], v[10:11], v[8:9]
	v_fma_f64 v[3:4], v[3:4], v[10:11], v[3:4]
	v_fma_f64 v[10:11], -v[8:9], v[8:9], v[6:7]
	v_fma_f64 v[8:9], v[10:11], v[3:4], v[8:9]
	v_fma_f64 v[10:11], -v[8:9], v[8:9], v[6:7]
	v_fma_f64 v[8:9], v[10:11], v[3:4], v[8:9]
	v_cndmask_b32_e64 v4, v26, 0, s3
	s_mov_b32 s3, s45
	s_or_b64 s[2:3], s[44:45], s[2:3]
	v_add_f64 v[3:4], -v[4:5], 1.0
	s_cmp_lg_u64 s[2:3], 0
	s_cselect_b32 s2, -1, 0
	s_or_b32 s2, s28, s2
	v_ldexp_f64 v[1:2], v[8:9], s1
	v_cmp_class_f64_e64 s1, v[6:7], 0x260
	v_cndmask_b32_e32 v46, 0x7ff80000, v4, vcc_lo
	v_cndmask_b32_e32 v45, 0, v3, vcc_lo
	s_andn2_b32 vcc_lo, exec_lo, s2
	v_cndmask_b32_e64 v44, v2, v7, s1
	v_cndmask_b32_e64 v43, v1, v6, s1
	s_mov_b32 s1, -1
	s_cbranch_vccz .LBB1_20
; %bb.6:
	v_cmp_gt_i64_e64 s1, 0x10000, s[30:31]
	v_mov_b32_e32 v48, 0
	v_lshlrev_b32_e32 v47, 2, v0
	s_mov_b32 s43, exec_lo
	s_and_b32 s1, s1, exec_lo
	s_cselect_b32 s29, s31, 0
	s_cselect_b32 s28, s30, 0x10000
	v_cmpx_gt_i64_e64 s[28:29], v[47:48]
	s_cbranch_execz .LBB1_19
; %bb.7:
	v_div_scale_f64 v[1:2], null, v[45:46], v[45:46], v[41:42]
	s_load_dword s2, s[4:5], 0xd34
	s_waitcnt lgkmcnt(0)
	v_cmp_neq_f64_e64 s1, s[16:17], 0
	s_cmp_lg_u64 s[8:9], 0
	v_lshlrev_b32_e32 v47, 5, v0
	s_cselect_b32 s44, -1, 0
	s_mov_b32 s46, 0
	s_and_b32 s45, s2, 0xffff
	v_rcp_f64_e32 v[3:4], v[1:2]
	s_lshl_b32 s47, s45, 5
	v_fma_f64 v[5:6], -v[1:2], v[3:4], 1.0
	v_fma_f64 v[3:4], v[3:4], v[5:6], v[3:4]
	v_fma_f64 v[5:6], -v[1:2], v[3:4], 1.0
	v_fma_f64 v[3:4], v[3:4], v[5:6], v[3:4]
	v_div_scale_f64 v[5:6], vcc_lo, v[41:42], v[45:46], v[41:42]
	v_mul_f64 v[7:8], v[5:6], v[3:4]
	v_fma_f64 v[1:2], -v[1:2], v[7:8], v[5:6]
	v_div_fmas_f64 v[1:2], v[1:2], v[3:4], v[7:8]
	v_div_fixup_f64 v[49:50], v[1:2], v[45:46], v[41:42]
	v_mov_b32_e32 v1, v48
	v_mov_b32_e32 v52, v1
	;; [unrolled: 1-line block ×3, first 2 shown]
	s_branch .LBB1_9
.LBB1_8:                                ;   in Loop: Header=BB1_9 Depth=1
	v_add_co_u32 v51, vcc_lo, v51, s45
	v_add_co_ci_u32_e64 v52, null, 0, v52, vcc_lo
	s_add_u32 s41, s41, s47
	s_addc_u32 s42, s42, 0
	s_add_u32 s33, s33, s47
	v_lshlrev_b64 v[1:2], 2, v[51:52]
	s_addc_u32 s34, s34, 0
	s_add_u32 s39, s39, s47
	s_addc_u32 s40, s40, 0
	s_add_u32 s35, s35, s47
	s_addc_u32 s36, s36, 0
	v_cmp_le_i64_e32 vcc_lo, s[28:29], v[1:2]
	s_add_u32 s37, s37, s47
	s_addc_u32 s38, s38, 0
	global_store_dwordx4 v[55:56], v[29:32], off
	global_store_dwordx4 v[55:56], v[17:20], off offset:16
	global_store_dwordx4 v[57:58], v[37:40], off
	global_store_dwordx4 v[57:58], v[25:28], off offset:16
	;; [unrolled: 2-line block ×3, first 2 shown]
	s_or_b32 s46, vcc_lo, s46
	s_andn2_b32 exec_lo, exec_lo, s46
	s_cbranch_execz .LBB1_19
.LBB1_9:                                ; =>This Inner Loop Header: Depth=1
	v_add_co_u32 v61, s2, s33, v47
	v_add_co_ci_u32_e64 v62, null, s34, 0, s2
	v_add_co_u32 v59, s2, s35, v47
	v_add_co_ci_u32_e64 v60, null, s36, 0, s2
	;; [unrolled: 2-line block ×5, first 2 shown]
	s_clause 0x1
	global_load_dwordx4 v[9:12], v[61:62], off offset:16
	global_load_dwordx4 v[13:16], v[61:62], off
	s_clause 0x1
	global_load_dwordx4 v[1:4], v[59:60], off offset:16
	global_load_dwordx4 v[5:8], v[59:60], off
	;; [unrolled: 3-line block ×5, first 2 shown]
	s_andn2_b32 vcc_lo, exec_lo, s44
	s_cbranch_vccnz .LBB1_11
; %bb.10:                               ;   in Loop: Header=BB1_9 Depth=1
	global_load_dword v63, v48, s[8:9]
	s_waitcnt vmcnt(0)
	v_cvt_f64_f32_e32 v[63:64], v63
	v_div_scale_f64 v[65:66], null, v[63:64], v[63:64], v[5:6]
	v_rcp_f64_e32 v[67:68], v[65:66]
	v_fma_f64 v[69:70], -v[65:66], v[67:68], 1.0
	v_fma_f64 v[67:68], v[67:68], v[69:70], v[67:68]
	v_fma_f64 v[69:70], -v[65:66], v[67:68], 1.0
	v_fma_f64 v[67:68], v[67:68], v[69:70], v[67:68]
	v_div_scale_f64 v[69:70], vcc_lo, v[5:6], v[63:64], v[5:6]
	v_mul_f64 v[71:72], v[69:70], v[67:68]
	v_fma_f64 v[65:66], -v[65:66], v[71:72], v[69:70]
	v_div_fmas_f64 v[65:66], v[65:66], v[67:68], v[71:72]
	v_div_fixup_f64 v[5:6], v[65:66], v[63:64], v[5:6]
.LBB1_11:                               ;   in Loop: Header=BB1_9 Depth=1
	s_andn2_b32 vcc_lo, exec_lo, s44
	s_cbranch_vccnz .LBB1_13
; %bb.12:                               ;   in Loop: Header=BB1_9 Depth=1
	global_load_dword v63, v48, s[8:9]
	s_waitcnt vmcnt(0)
	v_cvt_f64_f32_e32 v[63:64], v63
	v_div_scale_f64 v[65:66], null, v[63:64], v[63:64], v[7:8]
	v_rcp_f64_e32 v[67:68], v[65:66]
	v_fma_f64 v[69:70], -v[65:66], v[67:68], 1.0
	v_fma_f64 v[67:68], v[67:68], v[69:70], v[67:68]
	v_fma_f64 v[69:70], -v[65:66], v[67:68], 1.0
	v_fma_f64 v[67:68], v[67:68], v[69:70], v[67:68]
	v_div_scale_f64 v[69:70], vcc_lo, v[7:8], v[63:64], v[7:8]
	v_mul_f64 v[71:72], v[69:70], v[67:68]
	v_fma_f64 v[65:66], -v[65:66], v[71:72], v[69:70]
	v_div_fmas_f64 v[65:66], v[65:66], v[67:68], v[71:72]
	v_div_fixup_f64 v[7:8], v[65:66], v[63:64], v[7:8]
.LBB1_13:                               ;   in Loop: Header=BB1_9 Depth=1
	;; [unrolled: 18-line block ×4, first 2 shown]
	s_waitcnt vmcnt(7)
	v_xor_b32_e32 v64, 0x80000000, v2
	v_mov_b32_e32 v63, v1
	s_waitcnt vmcnt(1)
	v_max_f64 v[67:68], v[25:26], v[25:26]
	v_xor_b32_e32 v74, 0x80000000, v8
	v_mov_b32_e32 v73, v7
	v_cndmask_b32_e64 v64, v2, v64, s0
	v_xor_b32_e32 v96, 0x80000000, v4
	v_mov_b32_e32 v95, v3
	v_cndmask_b32_e64 v74, v8, v74, s0
	v_fma_f64 v[65:66], s[16:17], v[9:10], v[63:64]
	v_cndmask_b32_e64 v96, v4, v96, s0
	v_fma_f64 v[75:76], s[16:17], v[15:16], v[73:74]
	v_fma_f64 v[99:100], s[16:17], v[11:12], v[95:96]
	v_cndmask_b32_e64 v64, v64, v66, s1
	v_cndmask_b32_e64 v63, v1, v65, s1
	v_mul_f64 v[65:66], v[63:64], v[63:64]
	v_fma_f64 v[63:64], -s[12:13], v[63:64], v[63:64]
	v_fma_f64 v[65:66], -s[14:15], v[65:66], v[65:66]
	v_fma_f64 v[17:18], s[12:13], v[17:18], v[63:64]
	v_fma_f64 v[25:26], s[14:15], v[21:22], v[65:66]
	v_max_f64 v[21:22], v[67:68], v[25:26]
	v_cmp_gt_f64_e32 vcc_lo, 0x10000000, v[21:22]
	v_cndmask_b32_e64 v65, 0, 0x100, vcc_lo
	v_ldexp_f64 v[65:66], v[21:22], v65
	v_rsq_f64_e32 v[67:68], v[65:66]
	v_mul_f64 v[69:70], v[65:66], v[67:68]
	v_mul_f64 v[67:68], v[67:68], 0.5
	v_fma_f64 v[71:72], -v[67:68], v[69:70], 0.5
	v_fma_f64 v[69:70], v[69:70], v[71:72], v[69:70]
	v_fma_f64 v[67:68], v[67:68], v[71:72], v[67:68]
	v_fma_f64 v[71:72], -v[69:70], v[69:70], v[65:66]
	v_fma_f64 v[69:70], v[71:72], v[67:68], v[69:70]
	v_cndmask_b32_e64 v72, v74, v76, s1
	v_cndmask_b32_e64 v71, v7, v75, s1
	v_mul_f64 v[73:74], v[71:72], v[71:72]
	v_fma_f64 v[71:72], -s[12:13], v[71:72], v[71:72]
	v_fma_f64 v[75:76], -v[69:70], v[69:70], v[65:66]
	v_fma_f64 v[73:74], -s[14:15], v[73:74], v[73:74]
	v_fma_f64 v[31:32], s[12:13], v[31:32], v[71:72]
	v_fma_f64 v[67:68], v[75:76], v[67:68], v[69:70]
	s_waitcnt vmcnt(0)
	v_max_f64 v[69:70], v[39:40], v[39:40]
	v_cndmask_b32_e64 v75, 0, 0xffffff80, vcc_lo
	v_cmp_class_f64_e64 vcc_lo, v[65:66], 0x260
	v_fma_f64 v[39:40], s[14:15], v[35:36], v[73:74]
	v_ldexp_f64 v[67:68], v[67:68], v75
	v_max_f64 v[35:36], v[69:70], v[39:40]
	v_cndmask_b32_e32 v66, v68, v66, vcc_lo
	v_cndmask_b32_e32 v65, v67, v65, vcc_lo
	v_div_scale_f64 v[67:68], null, v[43:44], v[43:44], v[65:66]
	v_cmp_gt_f64_e64 s2, 0x10000000, v[35:36]
	v_div_scale_f64 v[83:84], vcc_lo, v[65:66], v[43:44], v[65:66]
	v_rcp_f64_e32 v[73:74], v[67:68]
	v_cndmask_b32_e64 v69, 0, 0x100, s2
	v_ldexp_f64 v[69:70], v[35:36], v69
	v_fma_f64 v[77:78], -v[67:68], v[73:74], 1.0
	v_rsq_f64_e32 v[75:76], v[69:70]
	v_fma_f64 v[73:74], v[73:74], v[77:78], v[73:74]
	v_mul_f64 v[79:80], v[69:70], v[75:76]
	v_mul_f64 v[75:76], v[75:76], 0.5
	v_fma_f64 v[81:82], -v[67:68], v[73:74], 1.0
	v_fma_f64 v[77:78], -v[75:76], v[79:80], 0.5
	v_fma_f64 v[73:74], v[73:74], v[81:82], v[73:74]
	v_xor_b32_e32 v82, 0x80000000, v6
	v_mov_b32_e32 v81, v5
	v_cndmask_b32_e64 v82, v6, v82, s0
	v_fma_f64 v[79:80], v[79:80], v[77:78], v[79:80]
	v_fma_f64 v[75:76], v[75:76], v[77:78], v[75:76]
	;; [unrolled: 1-line block ×3, first 2 shown]
	v_mul_f64 v[85:86], v[83:84], v[73:74]
	v_fma_f64 v[77:78], -v[79:80], v[79:80], v[69:70]
	v_fma_f64 v[67:68], -v[67:68], v[85:86], v[83:84]
	v_fma_f64 v[77:78], v[77:78], v[75:76], v[79:80]
	v_cndmask_b32_e64 v80, v82, v88, s1
	v_cndmask_b32_e64 v79, v5, v87, s1
	v_mul_f64 v[81:82], v[79:80], v[79:80]
	v_fma_f64 v[79:80], -s[12:13], v[79:80], v[79:80]
	v_div_fmas_f64 v[67:68], v[67:68], v[73:74], v[85:86]
	v_cmp_class_f64_e64 vcc_lo, v[69:70], 0x260
	v_fma_f64 v[83:84], -v[77:78], v[77:78], v[69:70]
	v_fma_f64 v[73:74], -s[14:15], v[81:82], v[81:82]
	v_fma_f64 v[29:30], s[12:13], v[29:30], v[79:80]
	v_div_fixup_f64 v[63:64], v[67:68], v[43:44], v[65:66]
	v_max_f64 v[65:66], v[37:38], v[37:38]
	v_fma_f64 v[75:76], v[83:84], v[75:76], v[77:78]
	v_fma_f64 v[37:38], s[14:15], v[33:34], v[73:74]
	v_cndmask_b32_e64 v33, 0, 0xffffff80, s2
	v_mul_f64 v[73:74], v[49:50], v[17:18]
	v_mul_f64 v[79:80], v[49:50], v[29:30]
	v_add_f64 v[63:64], s[18:19], v[63:64]
	v_ldexp_f64 v[67:68], v[75:76], v33
	v_max_f64 v[33:34], v[65:66], v[37:38]
	v_cndmask_b32_e32 v66, v68, v70, vcc_lo
	v_cndmask_b32_e32 v65, v67, v69, vcc_lo
	v_div_scale_f64 v[67:68], null, v[63:64], v[63:64], v[73:74]
	v_div_scale_f64 v[93:94], vcc_lo, v[73:74], v[63:64], v[73:74]
	v_div_scale_f64 v[69:70], null, v[43:44], v[43:44], v[65:66]
	v_cmp_gt_f64_e64 s2, 0x10000000, v[33:34]
	v_rcp_f64_e32 v[77:78], v[67:68]
	v_rcp_f64_e32 v[81:82], v[69:70]
	v_cndmask_b32_e64 v75, 0, 0x100, s2
	v_ldexp_f64 v[75:76], v[33:34], v75
	v_fma_f64 v[85:86], -v[67:68], v[77:78], 1.0
	v_fma_f64 v[87:88], -v[69:70], v[81:82], 1.0
	v_rsq_f64_e32 v[83:84], v[75:76]
	v_fma_f64 v[77:78], v[77:78], v[85:86], v[77:78]
	v_fma_f64 v[81:82], v[81:82], v[87:88], v[81:82]
	v_mul_f64 v[89:90], v[75:76], v[83:84]
	v_mul_f64 v[83:84], v[83:84], 0.5
	v_fma_f64 v[87:88], -v[67:68], v[77:78], 1.0
	v_fma_f64 v[91:92], -v[69:70], v[81:82], 1.0
	v_fma_f64 v[85:86], -v[83:84], v[89:90], 0.5
	v_fma_f64 v[77:78], v[77:78], v[87:88], v[77:78]
	v_div_scale_f64 v[87:88], s3, v[65:66], v[43:44], v[65:66]
	v_fma_f64 v[81:82], v[81:82], v[91:92], v[81:82]
	v_fma_f64 v[89:90], v[89:90], v[85:86], v[89:90]
	;; [unrolled: 1-line block ×3, first 2 shown]
	v_mul_f64 v[91:92], v[93:94], v[77:78]
	v_mul_f64 v[97:98], v[87:88], v[81:82]
	v_fma_f64 v[85:86], -v[89:90], v[89:90], v[75:76]
	v_fma_f64 v[67:68], -v[67:68], v[91:92], v[93:94]
	;; [unrolled: 1-line block ×3, first 2 shown]
	v_cndmask_b32_e64 v88, v96, v100, s1
	v_cndmask_b32_e64 v87, v3, v99, s1
	v_fma_f64 v[85:86], v[85:86], v[83:84], v[89:90]
	v_mul_f64 v[89:90], v[87:88], v[87:88]
	v_fma_f64 v[87:88], -s[12:13], v[87:88], v[87:88]
	v_div_fmas_f64 v[67:68], v[67:68], v[77:78], v[91:92]
	s_mov_b32 vcc_lo, s3
	v_div_fmas_f64 v[69:70], v[69:70], v[81:82], v[97:98]
	v_cmp_class_f64_e64 vcc_lo, v[75:76], 0x260
	v_fma_f64 v[93:94], -v[85:86], v[85:86], v[75:76]
	v_fma_f64 v[77:78], -s[14:15], v[89:90], v[89:90]
	v_fma_f64 v[19:20], s[12:13], v[19:20], v[87:88]
	v_div_fixup_f64 v[63:64], v[67:68], v[63:64], v[73:74]
	v_div_fixup_f64 v[65:66], v[69:70], v[43:44], v[65:66]
	v_max_f64 v[69:70], v[27:28], v[27:28]
	v_fma_f64 v[81:82], v[93:94], v[83:84], v[85:86]
	v_fma_f64 v[27:28], s[14:15], v[23:24], v[77:78]
	v_cndmask_b32_e64 v23, 0, 0xffffff80, s2
	v_mul_f64 v[77:78], v[49:50], v[31:32]
	v_add_f64 v[9:10], v[9:10], -v[63:64]
	v_add_f64 v[65:66], s[18:19], v[65:66]
	v_ldexp_f64 v[71:72], v[81:82], v23
	v_max_f64 v[23:24], v[69:70], v[27:28]
	v_cndmask_b32_e32 v70, v72, v76, vcc_lo
	v_cmp_gt_f64_e64 s2, 0x10000000, v[23:24]
	v_cndmask_b32_e32 v69, v71, v75, vcc_lo
	v_div_scale_f64 v[71:72], null, v[65:66], v[65:66], v[77:78]
	v_div_scale_f64 v[99:100], vcc_lo, v[77:78], v[65:66], v[77:78]
	v_div_scale_f64 v[75:76], null, v[43:44], v[43:44], v[69:70]
	v_cndmask_b32_e64 v81, 0, 0x100, s2
	v_rcp_f64_e32 v[83:84], v[71:72]
	v_ldexp_f64 v[81:82], v[23:24], v81
	v_rcp_f64_e32 v[85:86], v[75:76]
	v_fma_f64 v[91:92], -v[71:72], v[83:84], 1.0
	v_rsq_f64_e32 v[89:90], v[81:82]
	v_fma_f64 v[93:94], -v[75:76], v[85:86], 1.0
	v_fma_f64 v[83:84], v[83:84], v[91:92], v[83:84]
	v_mul_f64 v[95:96], v[81:82], v[89:90]
	v_mul_f64 v[89:90], v[89:90], 0.5
	v_fma_f64 v[85:86], v[85:86], v[93:94], v[85:86]
	v_fma_f64 v[93:94], -v[71:72], v[83:84], 1.0
	v_fma_f64 v[91:92], -v[89:90], v[95:96], 0.5
	;; [unrolled: 1-line block ×3, first 2 shown]
	v_fma_f64 v[83:84], v[83:84], v[93:94], v[83:84]
	v_div_scale_f64 v[93:94], s3, v[69:70], v[43:44], v[69:70]
	v_fma_f64 v[95:96], v[95:96], v[91:92], v[95:96]
	v_fma_f64 v[85:86], v[85:86], v[97:98], v[85:86]
	;; [unrolled: 1-line block ×3, first 2 shown]
	v_mul_f64 v[97:98], v[99:100], v[83:84]
	v_fma_f64 v[91:92], -v[95:96], v[95:96], v[81:82]
	v_mul_f64 v[101:102], v[93:94], v[85:86]
	v_fma_f64 v[71:72], -v[71:72], v[97:98], v[99:100]
	v_fma_f64 v[91:92], v[91:92], v[89:90], v[95:96]
	v_fma_f64 v[75:76], -v[75:76], v[101:102], v[93:94]
	v_div_fmas_f64 v[71:72], v[71:72], v[83:84], v[97:98]
	s_mov_b32 vcc_lo, s3
	v_fma_f64 v[93:94], -v[91:92], v[91:92], v[81:82]
	v_div_fmas_f64 v[75:76], v[75:76], v[85:86], v[101:102]
	v_cmp_class_f64_e64 vcc_lo, v[81:82], 0x260
	v_div_fixup_f64 v[65:66], v[71:72], v[65:66], v[77:78]
	v_fma_f64 v[83:84], v[93:94], v[89:90], v[91:92]
	v_div_fixup_f64 v[69:70], v[75:76], v[43:44], v[69:70]
	v_cndmask_b32_e64 v75, 0, 0xffffff80, s2
	v_add_f64 v[15:16], v[15:16], -v[65:66]
	v_ldexp_f64 v[75:76], v[83:84], v75
	v_add_f64 v[69:70], s[18:19], v[69:70]
	v_cndmask_b32_e32 v76, v76, v82, vcc_lo
	v_cndmask_b32_e32 v75, v75, v81, vcc_lo
	v_div_scale_f64 v[81:82], null, v[69:70], v[69:70], v[79:80]
	v_div_scale_f64 v[95:96], vcc_lo, v[79:80], v[69:70], v[79:80]
	v_div_scale_f64 v[83:84], null, v[43:44], v[43:44], v[75:76]
	v_rcp_f64_e32 v[85:86], v[81:82]
	v_rcp_f64_e32 v[89:90], v[83:84]
	v_fma_f64 v[91:92], -v[81:82], v[85:86], 1.0
	v_fma_f64 v[93:94], -v[83:84], v[89:90], 1.0
	v_fma_f64 v[85:86], v[85:86], v[91:92], v[85:86]
	v_fma_f64 v[89:90], v[89:90], v[93:94], v[89:90]
	v_fma_f64 v[91:92], -v[81:82], v[85:86], 1.0
	v_fma_f64 v[93:94], -v[83:84], v[89:90], 1.0
	v_fma_f64 v[85:86], v[85:86], v[91:92], v[85:86]
	v_div_scale_f64 v[91:92], s2, v[75:76], v[43:44], v[75:76]
	v_fma_f64 v[89:90], v[89:90], v[93:94], v[89:90]
	v_mul_f64 v[93:94], v[95:96], v[85:86]
	v_mul_f64 v[97:98], v[91:92], v[89:90]
	v_fma_f64 v[81:82], -v[81:82], v[93:94], v[95:96]
	v_fma_f64 v[83:84], -v[83:84], v[97:98], v[91:92]
	v_div_fmas_f64 v[81:82], v[81:82], v[85:86], v[93:94]
	s_mov_b32 vcc_lo, s2
	v_div_fmas_f64 v[83:84], v[83:84], v[89:90], v[97:98]
	v_div_fixup_f64 v[67:68], v[81:82], v[69:70], v[79:80]
	v_div_fixup_f64 v[75:76], v[83:84], v[43:44], v[75:76]
	v_mul_f64 v[83:84], v[49:50], v[19:20]
	v_add_f64 v[13:14], v[13:14], -v[67:68]
	v_add_f64 v[75:76], s[18:19], v[75:76]
	v_div_scale_f64 v[85:86], null, v[75:76], v[75:76], v[83:84]
	v_rcp_f64_e32 v[87:88], v[85:86]
	v_fma_f64 v[89:90], -v[85:86], v[87:88], 1.0
	v_fma_f64 v[87:88], v[87:88], v[89:90], v[87:88]
	v_fma_f64 v[89:90], -v[85:86], v[87:88], 1.0
	v_fma_f64 v[87:88], v[87:88], v[89:90], v[87:88]
	v_div_scale_f64 v[89:90], vcc_lo, v[83:84], v[75:76], v[83:84]
	v_mul_f64 v[91:92], v[89:90], v[87:88]
	v_fma_f64 v[85:86], -v[85:86], v[91:92], v[89:90]
	v_div_fmas_f64 v[85:86], v[85:86], v[87:88], v[91:92]
	s_andn2_b32 vcc_lo, exec_lo, s44
	v_div_fixup_f64 v[69:70], v[85:86], v[75:76], v[83:84]
	v_add_f64 v[11:12], v[11:12], -v[69:70]
	global_store_dwordx4 v[61:62], v[13:16], off
	global_store_dwordx4 v[61:62], v[9:12], off offset:16
	s_cbranch_vccnz .LBB1_8
; %bb.18:                               ;   in Loop: Header=BB1_9 Depth=1
	global_store_dwordx4 v[59:60], v[5:8], off
	global_store_dwordx4 v[59:60], v[1:4], off offset:16
	s_branch .LBB1_8
.LBB1_19:
	s_or_b32 exec_lo, exec_lo, s43
	s_mov_b32 s1, 0
.LBB1_20:
	s_andn2_b32 vcc_lo, exec_lo, s1
	s_cbranch_vccnz .LBB1_98
; %bb.21:
	v_cmp_lt_i64_e64 s1, s[30:31], 1
	s_and_b32 vcc_lo, exec_lo, s1
	s_cbranch_vccnz .LBB1_98
; %bb.22:
	v_div_scale_f64 v[3:4], null, v[45:46], v[45:46], v[41:42]
	v_div_scale_f64 v[9:10], vcc_lo, v[41:42], v[45:46], v[41:42]
	s_load_dword s3, s[4:5], 0xd34
	v_cmp_gt_i64_e64 s2, 0x10000, s[30:31]
	v_cmp_gt_u64_e64 s4, 0x10000, s[30:31]
	s_waitcnt lgkmcnt(0)
	v_cmp_neq_f64_e64 s1, s[16:17], 0
	s_and_b32 s2, s2, exec_lo
	s_cselect_b32 s29, s31, 0
	s_cselect_b32 s28, s30, 0x10000
	v_rcp_f64_e32 v[1:2], v[3:4]
	s_and_b32 s3, s3, 0xffff
	s_and_b32 s2, s4, exec_lo
	s_cselect_b32 s31, s31, 0
	s_cselect_b32 s30, s30, 0x10000
	s_lshl_b32 s2, s3, 1
	s_cmp_lg_u64 s[8:9], 0
	v_add_co_u32 v63, s2, s2, v0
	v_add_co_ci_u32_e64 v64, null, 0, 0, s2
	s_cselect_b32 s33, -1, 0
	s_lshl_b32 s2, s3, 4
	s_mul_i32 s4, s3, 3
	v_add_co_u32 v61, s4, s4, v0
	v_add_co_ci_u32_e64 v62, null, 0, 0, s4
	v_fma_f64 v[5:6], -v[3:4], v[1:2], 1.0
	v_fma_f64 v[5:6], v[1:2], v[5:6], v[1:2]
	v_lshlrev_b32_e32 v1, 3, v0
	v_mov_b32_e32 v2, 0
	v_add_co_u32 v49, s5, s10, v1
	v_add_co_ci_u32_e64 v50, null, s11, 0, s5
	v_add_co_u32 v51, s5, s20, v1
	v_add_co_ci_u32_e64 v52, null, s21, 0, s5
	v_add_co_u32 v53, s5, s22, v1
	v_mad_u64_u32 v[11:12], null, s3, 24, v[1:2]
	v_add_co_ci_u32_e64 v54, null, s23, 0, s5
	v_add_co_u32 v55, s5, s24, v1
	v_fma_f64 v[7:8], -v[3:4], v[5:6], 1.0
	v_add_co_ci_u32_e64 v56, null, s25, 0, s5
	v_add_co_u32 v57, s5, s26, v1
	v_add_co_ci_u32_e64 v58, null, s27, 0, s5
	v_add_co_u32 v59, s5, v0, s3
	v_add_co_ci_u32_e64 v60, null, 0, 0, s5
	v_lshlrev_b32_e32 v13, 3, v59
	v_fma_f64 v[5:6], v[5:6], v[7:8], v[5:6]
	v_mul_f64 v[7:8], v[9:10], v[5:6]
	v_fma_f64 v[3:4], -v[3:4], v[7:8], v[9:10]
	v_add_co_u32 v9, s2, s2, v1
	v_add_co_ci_u32_e64 v10, null, 0, 0, s2
	v_add_co_u32 v1, s2, s10, v11
	v_add_co_ci_u32_e64 v65, null, s11, v12, s2
	;; [unrolled: 2-line block ×5, first 2 shown]
	v_add_co_u32 v84, s2, s10, v13
	v_div_fmas_f64 v[3:4], v[3:4], v[5:6], v[7:8]
	v_add_co_u32 v72, vcc_lo, s26, v11
	v_add_co_ci_u32_e64 v73, null, s27, v12, vcc_lo
	v_add_co_u32 v74, vcc_lo, s10, v9
	v_add_co_ci_u32_e64 v75, null, s11, v10, vcc_lo
	v_add_co_u32 v76, vcc_lo, s20, v9
	v_add_co_ci_u32_e64 v85, null, s11, 0, s2
	v_add_co_u32 v86, s2, s20, v13
	v_add_co_ci_u32_e64 v77, null, s21, v10, vcc_lo
	v_add_co_u32 v78, vcc_lo, s22, v9
	v_add_co_ci_u32_e64 v87, null, s21, 0, s2
	v_add_co_u32 v88, s2, s22, v13
	v_div_fixup_f64 v[3:4], v[3:4], v[45:46], v[41:42]
	v_add_co_ci_u32_e64 v79, null, s23, v10, vcc_lo
	v_add_co_u32 v80, vcc_lo, s24, v9
	v_add_co_ci_u32_e64 v89, null, s23, 0, s2
	v_add_co_u32 v90, s2, s24, v13
	v_add_co_ci_u32_e64 v81, null, s25, v10, vcc_lo
	v_add_co_u32 v82, vcc_lo, s26, v9
	v_add_co_ci_u32_e64 v91, null, s25, 0, s2
	v_add_co_u32 v92, s2, s26, v13
	v_add_co_ci_u32_e64 v83, null, s27, v10, vcc_lo
	v_add_co_ci_u32_e64 v93, null, s27, 0, s2
	s_mov_b64 s[10:11], 0
	s_lshl_b32 s20, s3, 2
	s_lshl_b32 s21, s3, 5
	s_branch .LBB1_24
.LBB1_23:                               ;   in Loop: Header=BB1_24 Depth=1
	s_or_b32 exec_lo, exec_lo, s2
	v_add_co_u32 v49, vcc_lo, v49, s21
	v_add_co_ci_u32_e64 v50, null, 0, v50, vcc_lo
	v_add_co_u32 v51, vcc_lo, v51, s21
	v_add_co_ci_u32_e64 v52, null, 0, v52, vcc_lo
	;; [unrolled: 2-line block ×16, first 2 shown]
	v_add_co_u32 v86, vcc_lo, v86, s21
	s_add_u32 s10, s10, s20
	v_add_co_ci_u32_e64 v87, null, 0, v87, vcc_lo
	v_add_co_u32 v88, vcc_lo, v88, s21
	s_addc_u32 s11, s11, 0
	v_add_co_ci_u32_e64 v89, null, 0, v89, vcc_lo
	v_add_co_u32 v90, vcc_lo, v90, s21
	v_cmp_ge_i64_e64 s2, s[10:11], s[28:29]
	v_add_co_ci_u32_e64 v91, null, 0, v91, vcc_lo
	v_add_co_u32 v92, vcc_lo, v92, s21
	v_add_co_ci_u32_e64 v93, null, 0, v93, vcc_lo
	s_and_b32 vcc_lo, exec_lo, s2
	s_cbranch_vccnz .LBB1_98
.LBB1_24:                               ; =>This Inner Loop Header: Depth=1
	v_add_co_u32 v5, s2, v0, s10
	v_add_co_ci_u32_e64 v6, null, 0, s11, s2
	v_mov_b32_e32 v13, 0
	v_mov_b32_e32 v21, 0
	;; [unrolled: 1-line block ×3, first 2 shown]
	v_cmp_gt_u64_e64 s2, s[30:31], v[5:6]
	v_mov_b32_e32 v5, 0
	v_mov_b32_e32 v6, 0
	;; [unrolled: 1-line block ×3, first 2 shown]
	s_and_saveexec_b32 s3, s2
	s_cbranch_execz .LBB1_26
; %bb.25:                               ;   in Loop: Header=BB1_24 Depth=1
	v_add_co_u32 v5, vcc_lo, v49, s6
	v_add_co_ci_u32_e64 v6, null, s7, v50, vcc_lo
	v_add_co_u32 v7, vcc_lo, v51, s6
	v_add_co_ci_u32_e64 v8, null, s7, v52, vcc_lo
	global_load_dwordx2 v[21:22], v[5:6], off
	global_load_dwordx2 v[5:6], v[7:8], off
.LBB1_26:                               ;   in Loop: Header=BB1_24 Depth=1
	s_or_b32 exec_lo, exec_lo, s3
	v_mov_b32_e32 v37, 0
	v_mov_b32_e32 v38, 0
	s_and_saveexec_b32 s3, s2
	s_cbranch_execz .LBB1_28
; %bb.27:                               ;   in Loop: Header=BB1_24 Depth=1
	v_add_co_u32 v7, vcc_lo, v53, s6
	v_add_co_ci_u32_e64 v8, null, s7, v54, vcc_lo
	v_add_co_u32 v9, vcc_lo, v55, s6
	v_add_co_ci_u32_e64 v10, null, s7, v56, vcc_lo
	global_load_dwordx2 v[37:38], v[7:8], off
	global_load_dwordx2 v[13:14], v[9:10], off
.LBB1_28:                               ;   in Loop: Header=BB1_24 Depth=1
	s_or_b32 exec_lo, exec_lo, s3
	v_mov_b32_e32 v7, 0
	v_mov_b32_e32 v47, 0
	v_mov_b32_e32 v8, 0
	v_mov_b32_e32 v48, 0
	s_and_saveexec_b32 s3, s2
	s_cbranch_execz .LBB1_30
; %bb.29:                               ;   in Loop: Header=BB1_24 Depth=1
	v_add_co_u32 v9, vcc_lo, v57, s6
	v_add_co_ci_u32_e64 v10, null, s7, v58, vcc_lo
	global_load_dwordx2 v[47:48], v[9:10], off
.LBB1_30:                               ;   in Loop: Header=BB1_24 Depth=1
	s_or_b32 exec_lo, exec_lo, s3
	v_add_co_u32 v9, vcc_lo, v59, s10
	v_add_co_ci_u32_e64 v10, null, s11, v60, vcc_lo
	v_mov_b32_e32 v19, 0
	v_mov_b32_e32 v20, 0
	v_cmp_gt_u64_e64 s3, s[30:31], v[9:10]
	s_and_saveexec_b32 s4, s3
	s_cbranch_execz .LBB1_32
; %bb.31:                               ;   in Loop: Header=BB1_24 Depth=1
	v_add_co_u32 v7, vcc_lo, v84, s6
	v_add_co_ci_u32_e64 v8, null, s7, v85, vcc_lo
	v_add_co_u32 v9, vcc_lo, v86, s6
	v_add_co_ci_u32_e64 v10, null, s7, v87, vcc_lo
	global_load_dwordx2 v[19:20], v[7:8], off
	global_load_dwordx2 v[7:8], v[9:10], off
.LBB1_32:                               ;   in Loop: Header=BB1_24 Depth=1
	s_or_b32 exec_lo, exec_lo, s4
	v_mov_b32_e32 v35, 0
	v_mov_b32_e32 v41, 0
	;; [unrolled: 1-line block ×6, first 2 shown]
	s_and_saveexec_b32 s4, s3
	s_cbranch_execz .LBB1_34
; %bb.33:                               ;   in Loop: Header=BB1_24 Depth=1
	v_add_co_u32 v9, vcc_lo, v88, s6
	v_add_co_ci_u32_e64 v10, null, s7, v89, vcc_lo
	v_add_co_u32 v11, vcc_lo, v90, s6
	v_add_co_ci_u32_e64 v12, null, s7, v91, vcc_lo
	global_load_dwordx2 v[39:40], v[9:10], off
	global_load_dwordx2 v[41:42], v[11:12], off
.LBB1_34:                               ;   in Loop: Header=BB1_24 Depth=1
	s_or_b32 exec_lo, exec_lo, s4
	s_and_saveexec_b32 s4, s3
	s_cbranch_execz .LBB1_36
; %bb.35:                               ;   in Loop: Header=BB1_24 Depth=1
	v_add_co_u32 v9, vcc_lo, v92, s6
	v_add_co_ci_u32_e64 v10, null, s7, v93, vcc_lo
	global_load_dwordx2 v[35:36], v[9:10], off
.LBB1_36:                               ;   in Loop: Header=BB1_24 Depth=1
	s_or_b32 exec_lo, exec_lo, s4
	v_add_co_u32 v9, vcc_lo, v63, s10
	v_add_co_ci_u32_e64 v10, null, s11, v64, vcc_lo
	v_mov_b32_e32 v25, 0
	v_mov_b32_e32 v17, 0
	;; [unrolled: 1-line block ×3, first 2 shown]
	v_cmp_gt_u64_e64 s4, s[30:31], v[9:10]
	v_mov_b32_e32 v9, 0
	v_mov_b32_e32 v10, 0
	;; [unrolled: 1-line block ×3, first 2 shown]
	s_and_saveexec_b32 s5, s4
	s_cbranch_execz .LBB1_38
; %bb.37:                               ;   in Loop: Header=BB1_24 Depth=1
	v_add_co_u32 v9, vcc_lo, v74, s6
	v_add_co_ci_u32_e64 v10, null, s7, v75, vcc_lo
	v_add_co_u32 v11, vcc_lo, v76, s6
	v_add_co_ci_u32_e64 v12, null, s7, v77, vcc_lo
	global_load_dwordx2 v[17:18], v[9:10], off
	global_load_dwordx2 v[9:10], v[11:12], off
.LBB1_38:                               ;   in Loop: Header=BB1_24 Depth=1
	s_or_b32 exec_lo, exec_lo, s5
	v_mov_b32_e32 v33, 0
	v_mov_b32_e32 v34, 0
	s_and_saveexec_b32 s5, s4
	s_cbranch_execz .LBB1_40
; %bb.39:                               ;   in Loop: Header=BB1_24 Depth=1
	v_add_co_u32 v11, vcc_lo, v78, s6
	v_add_co_ci_u32_e64 v12, null, s7, v79, vcc_lo
	v_add_co_u32 v15, vcc_lo, v80, s6
	v_add_co_ci_u32_e64 v16, null, s7, v81, vcc_lo
	global_load_dwordx2 v[33:34], v[11:12], off
	global_load_dwordx2 v[25:26], v[15:16], off
.LBB1_40:                               ;   in Loop: Header=BB1_24 Depth=1
	s_or_b32 exec_lo, exec_lo, s5
	v_mov_b32_e32 v11, 0
	v_mov_b32_e32 v45, 0
	;; [unrolled: 1-line block ×4, first 2 shown]
	s_and_saveexec_b32 s5, s4
	s_cbranch_execz .LBB1_42
; %bb.41:                               ;   in Loop: Header=BB1_24 Depth=1
	v_add_co_u32 v15, vcc_lo, v82, s6
	v_add_co_ci_u32_e64 v16, null, s7, v83, vcc_lo
	global_load_dwordx2 v[45:46], v[15:16], off
.LBB1_42:                               ;   in Loop: Header=BB1_24 Depth=1
	s_or_b32 exec_lo, exec_lo, s5
	v_add_co_u32 v15, vcc_lo, v61, s10
	v_add_co_ci_u32_e64 v16, null, s11, v62, vcc_lo
	v_cmp_gt_u64_e64 s5, s[30:31], v[15:16]
	v_mov_b32_e32 v15, 0
	v_mov_b32_e32 v16, 0
	s_and_saveexec_b32 s22, s5
	s_cbranch_execz .LBB1_44
; %bb.43:                               ;   in Loop: Header=BB1_24 Depth=1
	v_add_co_u32 v11, vcc_lo, v1, s6
	v_add_co_ci_u32_e64 v12, null, s7, v65, vcc_lo
	v_add_co_u32 v23, vcc_lo, v66, s6
	v_add_co_ci_u32_e64 v24, null, s7, v67, vcc_lo
	global_load_dwordx2 v[15:16], v[11:12], off
	global_load_dwordx2 v[11:12], v[23:24], off
.LBB1_44:                               ;   in Loop: Header=BB1_24 Depth=1
	s_or_b32 exec_lo, exec_lo, s22
	v_mov_b32_e32 v27, 0
	v_mov_b32_e32 v31, 0
	;; [unrolled: 1-line block ×6, first 2 shown]
	s_and_saveexec_b32 s22, s5
	s_cbranch_execnz .LBB1_81
; %bb.45:                               ;   in Loop: Header=BB1_24 Depth=1
	s_or_b32 exec_lo, exec_lo, s22
	s_and_saveexec_b32 s22, s5
	s_cbranch_execnz .LBB1_82
.LBB1_46:                               ;   in Loop: Header=BB1_24 Depth=1
	s_or_b32 exec_lo, exec_lo, s22
	s_andn2_b32 vcc_lo, exec_lo, s33
	s_cbranch_vccnz .LBB1_48
.LBB1_47:                               ;   in Loop: Header=BB1_24 Depth=1
	global_load_dword v23, v2, s[8:9]
	s_waitcnt vmcnt(0)
	v_cvt_f64_f32_e32 v[23:24], v23
	v_div_scale_f64 v[94:95], null, v[23:24], v[23:24], v[5:6]
	v_rcp_f64_e32 v[96:97], v[94:95]
	v_fma_f64 v[98:99], -v[94:95], v[96:97], 1.0
	v_fma_f64 v[96:97], v[96:97], v[98:99], v[96:97]
	v_fma_f64 v[98:99], -v[94:95], v[96:97], 1.0
	v_fma_f64 v[96:97], v[96:97], v[98:99], v[96:97]
	v_div_scale_f64 v[98:99], vcc_lo, v[5:6], v[23:24], v[5:6]
	v_mul_f64 v[100:101], v[98:99], v[96:97]
	v_fma_f64 v[94:95], -v[94:95], v[100:101], v[98:99]
	v_div_fmas_f64 v[94:95], v[94:95], v[96:97], v[100:101]
	v_div_fixup_f64 v[5:6], v[94:95], v[23:24], v[5:6]
.LBB1_48:                               ;   in Loop: Header=BB1_24 Depth=1
	s_andn2_b32 vcc_lo, exec_lo, s33
	s_cbranch_vccnz .LBB1_50
; %bb.49:                               ;   in Loop: Header=BB1_24 Depth=1
	global_load_dword v23, v2, s[8:9]
	s_waitcnt vmcnt(0)
	v_cvt_f64_f32_e32 v[23:24], v23
	v_div_scale_f64 v[94:95], null, v[23:24], v[23:24], v[7:8]
	v_rcp_f64_e32 v[96:97], v[94:95]
	v_fma_f64 v[98:99], -v[94:95], v[96:97], 1.0
	v_fma_f64 v[96:97], v[96:97], v[98:99], v[96:97]
	v_fma_f64 v[98:99], -v[94:95], v[96:97], 1.0
	v_fma_f64 v[96:97], v[96:97], v[98:99], v[96:97]
	v_div_scale_f64 v[98:99], vcc_lo, v[7:8], v[23:24], v[7:8]
	v_mul_f64 v[100:101], v[98:99], v[96:97]
	v_fma_f64 v[94:95], -v[94:95], v[100:101], v[98:99]
	v_div_fmas_f64 v[94:95], v[94:95], v[96:97], v[100:101]
	v_div_fixup_f64 v[7:8], v[94:95], v[23:24], v[7:8]
.LBB1_50:                               ;   in Loop: Header=BB1_24 Depth=1
	s_andn2_b32 vcc_lo, exec_lo, s33
	s_cbranch_vccnz .LBB1_52
; %bb.51:                               ;   in Loop: Header=BB1_24 Depth=1
	global_load_dword v23, v2, s[8:9]
	s_waitcnt vmcnt(0)
	v_cvt_f64_f32_e32 v[23:24], v23
	v_div_scale_f64 v[94:95], null, v[23:24], v[23:24], v[9:10]
	v_rcp_f64_e32 v[96:97], v[94:95]
	v_fma_f64 v[98:99], -v[94:95], v[96:97], 1.0
	v_fma_f64 v[96:97], v[96:97], v[98:99], v[96:97]
	v_fma_f64 v[98:99], -v[94:95], v[96:97], 1.0
	v_fma_f64 v[96:97], v[96:97], v[98:99], v[96:97]
	v_div_scale_f64 v[98:99], vcc_lo, v[9:10], v[23:24], v[9:10]
	v_mul_f64 v[100:101], v[98:99], v[96:97]
	v_fma_f64 v[94:95], -v[94:95], v[100:101], v[98:99]
	v_div_fmas_f64 v[94:95], v[94:95], v[96:97], v[100:101]
	v_div_fixup_f64 v[9:10], v[94:95], v[23:24], v[9:10]
.LBB1_52:                               ;   in Loop: Header=BB1_24 Depth=1
	;; [unrolled: 18-line block ×3, first 2 shown]
	s_waitcnt vmcnt(0)
	v_xor_b32_e32 v24, 0x80000000, v6
	v_mov_b32_e32 v23, v5
	v_cndmask_b32_e64 v24, v6, v24, s0
	v_fma_f64 v[94:95], s[16:17], v[21:22], v[23:24]
	v_cndmask_b32_e64 v24, v24, v95, s1
	v_cndmask_b32_e64 v23, v5, v94, s1
	v_mul_f64 v[94:95], v[23:24], v[23:24]
	v_fma_f64 v[96:97], -s[12:13], v[23:24], v[23:24]
	v_fma_f64 v[94:95], -s[14:15], v[94:95], v[94:95]
	v_fma_f64 v[37:38], s[12:13], v[37:38], v[96:97]
	v_fma_f64 v[23:24], s[14:15], v[13:14], v[94:95]
	v_max_f64 v[13:14], v[47:48], v[47:48]
	v_max_f64 v[13:14], v[13:14], v[23:24]
	s_and_saveexec_b32 s22, s2
	s_cbranch_execz .LBB1_56
; %bb.55:                               ;   in Loop: Header=BB1_24 Depth=1
	v_cmp_gt_f64_e32 vcc_lo, 0x10000000, v[13:14]
	v_cndmask_b32_e64 v47, 0, 0x100, vcc_lo
	v_ldexp_f64 v[47:48], v[13:14], v47
	v_rsq_f64_e32 v[94:95], v[47:48]
	v_mul_f64 v[96:97], v[47:48], v[94:95]
	v_mul_f64 v[94:95], v[94:95], 0.5
	v_fma_f64 v[98:99], -v[94:95], v[96:97], 0.5
	v_fma_f64 v[96:97], v[96:97], v[98:99], v[96:97]
	v_fma_f64 v[94:95], v[94:95], v[98:99], v[94:95]
	v_fma_f64 v[98:99], -v[96:97], v[96:97], v[47:48]
	v_fma_f64 v[96:97], v[98:99], v[94:95], v[96:97]
	v_fma_f64 v[98:99], -v[96:97], v[96:97], v[47:48]
	v_fma_f64 v[94:95], v[98:99], v[94:95], v[96:97]
	v_cndmask_b32_e64 v96, 0, 0xffffff80, vcc_lo
	v_cmp_class_f64_e64 vcc_lo, v[47:48], 0x260
	v_ldexp_f64 v[94:95], v[94:95], v96
	v_cndmask_b32_e32 v48, v95, v48, vcc_lo
	v_cndmask_b32_e32 v47, v94, v47, vcc_lo
	v_div_scale_f64 v[94:95], null, v[43:44], v[43:44], v[47:48]
	v_div_scale_f64 v[100:101], vcc_lo, v[47:48], v[43:44], v[47:48]
	v_rcp_f64_e32 v[96:97], v[94:95]
	v_fma_f64 v[98:99], -v[94:95], v[96:97], 1.0
	v_fma_f64 v[96:97], v[96:97], v[98:99], v[96:97]
	v_fma_f64 v[98:99], -v[94:95], v[96:97], 1.0
	v_fma_f64 v[96:97], v[96:97], v[98:99], v[96:97]
	v_mul_f64 v[98:99], v[100:101], v[96:97]
	v_fma_f64 v[94:95], -v[94:95], v[98:99], v[100:101]
	v_div_fmas_f64 v[94:95], v[94:95], v[96:97], v[98:99]
	v_div_fixup_f64 v[47:48], v[94:95], v[43:44], v[47:48]
	v_mul_f64 v[94:95], v[3:4], v[37:38]
	v_add_f64 v[47:48], s[18:19], v[47:48]
	v_div_scale_f64 v[96:97], null, v[47:48], v[47:48], v[94:95]
	v_rcp_f64_e32 v[98:99], v[96:97]
	v_fma_f64 v[100:101], -v[96:97], v[98:99], 1.0
	v_fma_f64 v[98:99], v[98:99], v[100:101], v[98:99]
	v_fma_f64 v[100:101], -v[96:97], v[98:99], 1.0
	v_fma_f64 v[98:99], v[98:99], v[100:101], v[98:99]
	v_div_scale_f64 v[100:101], vcc_lo, v[94:95], v[47:48], v[94:95]
	v_mul_f64 v[102:103], v[100:101], v[98:99]
	v_fma_f64 v[96:97], -v[96:97], v[102:103], v[100:101]
	v_div_fmas_f64 v[96:97], v[96:97], v[98:99], v[102:103]
	v_div_fixup_f64 v[47:48], v[96:97], v[47:48], v[94:95]
	v_add_f64 v[21:22], v[21:22], -v[47:48]
	v_add_co_u32 v47, vcc_lo, v49, s6
	v_add_co_ci_u32_e64 v48, null, s7, v50, vcc_lo
	global_store_dwordx2 v[47:48], v[21:22], off
.LBB1_56:                               ;   in Loop: Header=BB1_24 Depth=1
	s_or_b32 exec_lo, exec_lo, s22
	v_xor_b32_e32 v22, 0x80000000, v8
	v_mov_b32_e32 v21, v7
	v_cndmask_b32_e64 v22, v8, v22, s0
	v_fma_f64 v[47:48], s[16:17], v[19:20], v[21:22]
	v_cndmask_b32_e64 v22, v22, v48, s1
	v_cndmask_b32_e64 v21, v7, v47, s1
	v_mul_f64 v[47:48], v[21:22], v[21:22]
	v_fma_f64 v[21:22], -s[12:13], v[21:22], v[21:22]
	v_fma_f64 v[47:48], -s[14:15], v[47:48], v[47:48]
	v_fma_f64 v[41:42], s[14:15], v[41:42], v[47:48]
	v_max_f64 v[47:48], v[35:36], v[35:36]
	v_fma_f64 v[35:36], s[12:13], v[39:40], v[21:22]
	v_max_f64 v[21:22], v[47:48], v[41:42]
	s_and_saveexec_b32 s22, s3
	s_cbranch_execz .LBB1_58
; %bb.57:                               ;   in Loop: Header=BB1_24 Depth=1
	v_cmp_gt_f64_e32 vcc_lo, 0x10000000, v[21:22]
	v_cndmask_b32_e64 v39, 0, 0x100, vcc_lo
	v_ldexp_f64 v[39:40], v[21:22], v39
	v_rsq_f64_e32 v[47:48], v[39:40]
	v_mul_f64 v[94:95], v[39:40], v[47:48]
	v_mul_f64 v[47:48], v[47:48], 0.5
	v_fma_f64 v[96:97], -v[47:48], v[94:95], 0.5
	v_fma_f64 v[94:95], v[94:95], v[96:97], v[94:95]
	v_fma_f64 v[47:48], v[47:48], v[96:97], v[47:48]
	v_fma_f64 v[96:97], -v[94:95], v[94:95], v[39:40]
	v_fma_f64 v[94:95], v[96:97], v[47:48], v[94:95]
	v_fma_f64 v[96:97], -v[94:95], v[94:95], v[39:40]
	v_fma_f64 v[47:48], v[96:97], v[47:48], v[94:95]
	v_cndmask_b32_e64 v94, 0, 0xffffff80, vcc_lo
	v_cmp_class_f64_e64 vcc_lo, v[39:40], 0x260
	v_ldexp_f64 v[47:48], v[47:48], v94
	v_cndmask_b32_e32 v40, v48, v40, vcc_lo
	v_cndmask_b32_e32 v39, v47, v39, vcc_lo
	v_div_scale_f64 v[47:48], null, v[43:44], v[43:44], v[39:40]
	v_div_scale_f64 v[98:99], vcc_lo, v[39:40], v[43:44], v[39:40]
	v_rcp_f64_e32 v[94:95], v[47:48]
	v_fma_f64 v[96:97], -v[47:48], v[94:95], 1.0
	v_fma_f64 v[94:95], v[94:95], v[96:97], v[94:95]
	v_fma_f64 v[96:97], -v[47:48], v[94:95], 1.0
	v_fma_f64 v[94:95], v[94:95], v[96:97], v[94:95]
	v_mul_f64 v[96:97], v[98:99], v[94:95]
	v_fma_f64 v[47:48], -v[47:48], v[96:97], v[98:99]
	v_div_fmas_f64 v[47:48], v[47:48], v[94:95], v[96:97]
	v_div_fixup_f64 v[39:40], v[47:48], v[43:44], v[39:40]
	v_mul_f64 v[47:48], v[3:4], v[35:36]
	v_add_f64 v[39:40], s[18:19], v[39:40]
	v_div_scale_f64 v[94:95], null, v[39:40], v[39:40], v[47:48]
	v_rcp_f64_e32 v[96:97], v[94:95]
	v_fma_f64 v[98:99], -v[94:95], v[96:97], 1.0
	v_fma_f64 v[96:97], v[96:97], v[98:99], v[96:97]
	v_fma_f64 v[98:99], -v[94:95], v[96:97], 1.0
	v_fma_f64 v[96:97], v[96:97], v[98:99], v[96:97]
	v_div_scale_f64 v[98:99], vcc_lo, v[47:48], v[39:40], v[47:48]
	v_mul_f64 v[100:101], v[98:99], v[96:97]
	v_fma_f64 v[94:95], -v[94:95], v[100:101], v[98:99]
	v_div_fmas_f64 v[94:95], v[94:95], v[96:97], v[100:101]
	v_div_fixup_f64 v[39:40], v[94:95], v[39:40], v[47:48]
	v_add_f64 v[19:20], v[19:20], -v[39:40]
	v_add_co_u32 v39, vcc_lo, v84, s6
	v_add_co_ci_u32_e64 v40, null, s7, v85, vcc_lo
	global_store_dwordx2 v[39:40], v[19:20], off
.LBB1_58:                               ;   in Loop: Header=BB1_24 Depth=1
	s_or_b32 exec_lo, exec_lo, s22
	v_xor_b32_e32 v20, 0x80000000, v10
	v_mov_b32_e32 v19, v9
	v_cndmask_b32_e64 v20, v10, v20, s0
	v_fma_f64 v[39:40], s[16:17], v[17:18], v[19:20]
	v_cndmask_b32_e64 v20, v20, v40, s1
	v_cndmask_b32_e64 v19, v9, v39, s1
	v_mul_f64 v[39:40], v[19:20], v[19:20]
	v_fma_f64 v[19:20], -s[12:13], v[19:20], v[19:20]
	v_fma_f64 v[39:40], -s[14:15], v[39:40], v[39:40]
	v_fma_f64 v[33:34], s[12:13], v[33:34], v[19:20]
	v_fma_f64 v[25:26], s[14:15], v[25:26], v[39:40]
	v_max_f64 v[39:40], v[45:46], v[45:46]
	v_max_f64 v[19:20], v[39:40], v[25:26]
	s_and_saveexec_b32 s22, s4
	s_cbranch_execz .LBB1_60
; %bb.59:                               ;   in Loop: Header=BB1_24 Depth=1
	v_cmp_gt_f64_e32 vcc_lo, 0x10000000, v[19:20]
	v_cndmask_b32_e64 v39, 0, 0x100, vcc_lo
	v_ldexp_f64 v[39:40], v[19:20], v39
	v_rsq_f64_e32 v[45:46], v[39:40]
	v_mul_f64 v[47:48], v[39:40], v[45:46]
	v_mul_f64 v[45:46], v[45:46], 0.5
	v_fma_f64 v[94:95], -v[45:46], v[47:48], 0.5
	v_fma_f64 v[47:48], v[47:48], v[94:95], v[47:48]
	v_fma_f64 v[45:46], v[45:46], v[94:95], v[45:46]
	v_fma_f64 v[94:95], -v[47:48], v[47:48], v[39:40]
	v_fma_f64 v[47:48], v[94:95], v[45:46], v[47:48]
	v_fma_f64 v[94:95], -v[47:48], v[47:48], v[39:40]
	v_fma_f64 v[45:46], v[94:95], v[45:46], v[47:48]
	v_cndmask_b32_e64 v47, 0, 0xffffff80, vcc_lo
	v_cmp_class_f64_e64 vcc_lo, v[39:40], 0x260
	v_ldexp_f64 v[45:46], v[45:46], v47
	v_cndmask_b32_e32 v40, v46, v40, vcc_lo
	v_cndmask_b32_e32 v39, v45, v39, vcc_lo
	v_div_scale_f64 v[45:46], null, v[43:44], v[43:44], v[39:40]
	v_div_scale_f64 v[96:97], vcc_lo, v[39:40], v[43:44], v[39:40]
	v_rcp_f64_e32 v[47:48], v[45:46]
	v_fma_f64 v[94:95], -v[45:46], v[47:48], 1.0
	v_fma_f64 v[47:48], v[47:48], v[94:95], v[47:48]
	v_fma_f64 v[94:95], -v[45:46], v[47:48], 1.0
	v_fma_f64 v[47:48], v[47:48], v[94:95], v[47:48]
	v_mul_f64 v[94:95], v[96:97], v[47:48]
	v_fma_f64 v[45:46], -v[45:46], v[94:95], v[96:97]
	v_div_fmas_f64 v[45:46], v[45:46], v[47:48], v[94:95]
	v_div_fixup_f64 v[39:40], v[45:46], v[43:44], v[39:40]
	v_mul_f64 v[45:46], v[3:4], v[33:34]
	v_add_f64 v[39:40], s[18:19], v[39:40]
	v_div_scale_f64 v[47:48], null, v[39:40], v[39:40], v[45:46]
	v_rcp_f64_e32 v[94:95], v[47:48]
	v_fma_f64 v[96:97], -v[47:48], v[94:95], 1.0
	v_fma_f64 v[94:95], v[94:95], v[96:97], v[94:95]
	v_fma_f64 v[96:97], -v[47:48], v[94:95], 1.0
	v_fma_f64 v[94:95], v[94:95], v[96:97], v[94:95]
	v_div_scale_f64 v[96:97], vcc_lo, v[45:46], v[39:40], v[45:46]
	v_mul_f64 v[98:99], v[96:97], v[94:95]
	v_fma_f64 v[47:48], -v[47:48], v[98:99], v[96:97]
	v_div_fmas_f64 v[47:48], v[47:48], v[94:95], v[98:99]
	v_div_fixup_f64 v[39:40], v[47:48], v[39:40], v[45:46]
	v_add_f64 v[17:18], v[17:18], -v[39:40]
	v_add_co_u32 v39, vcc_lo, v74, s6
	v_add_co_ci_u32_e64 v40, null, s7, v75, vcc_lo
	global_store_dwordx2 v[39:40], v[17:18], off
.LBB1_60:                               ;   in Loop: Header=BB1_24 Depth=1
	s_or_b32 exec_lo, exec_lo, s22
	v_xor_b32_e32 v18, 0x80000000, v12
	v_mov_b32_e32 v17, v11
	v_cndmask_b32_e64 v18, v12, v18, s0
	v_fma_f64 v[39:40], s[16:17], v[15:16], v[17:18]
	v_cndmask_b32_e64 v18, v18, v40, s1
	v_cndmask_b32_e64 v17, v11, v39, s1
	v_mul_f64 v[39:40], v[17:18], v[17:18]
	v_fma_f64 v[17:18], -s[12:13], v[17:18], v[17:18]
	v_fma_f64 v[39:40], -s[14:15], v[39:40], v[39:40]
	v_fma_f64 v[31:32], s[14:15], v[31:32], v[39:40]
	v_max_f64 v[39:40], v[27:28], v[27:28]
	v_fma_f64 v[27:28], s[12:13], v[29:30], v[17:18]
	v_max_f64 v[17:18], v[39:40], v[31:32]
	s_and_saveexec_b32 s22, s5
	s_cbranch_execz .LBB1_62
; %bb.61:                               ;   in Loop: Header=BB1_24 Depth=1
	v_cmp_gt_f64_e32 vcc_lo, 0x10000000, v[17:18]
	v_cndmask_b32_e64 v29, 0, 0x100, vcc_lo
	v_ldexp_f64 v[29:30], v[17:18], v29
	v_rsq_f64_e32 v[39:40], v[29:30]
	v_mul_f64 v[45:46], v[29:30], v[39:40]
	v_mul_f64 v[39:40], v[39:40], 0.5
	v_fma_f64 v[47:48], -v[39:40], v[45:46], 0.5
	v_fma_f64 v[45:46], v[45:46], v[47:48], v[45:46]
	v_fma_f64 v[39:40], v[39:40], v[47:48], v[39:40]
	v_fma_f64 v[47:48], -v[45:46], v[45:46], v[29:30]
	v_fma_f64 v[45:46], v[47:48], v[39:40], v[45:46]
	v_fma_f64 v[47:48], -v[45:46], v[45:46], v[29:30]
	v_fma_f64 v[39:40], v[47:48], v[39:40], v[45:46]
	v_cndmask_b32_e64 v45, 0, 0xffffff80, vcc_lo
	v_cmp_class_f64_e64 vcc_lo, v[29:30], 0x260
	v_ldexp_f64 v[39:40], v[39:40], v45
	v_cndmask_b32_e32 v30, v40, v30, vcc_lo
	v_cndmask_b32_e32 v29, v39, v29, vcc_lo
	v_div_scale_f64 v[39:40], null, v[43:44], v[43:44], v[29:30]
	v_div_scale_f64 v[94:95], vcc_lo, v[29:30], v[43:44], v[29:30]
	v_rcp_f64_e32 v[45:46], v[39:40]
	v_fma_f64 v[47:48], -v[39:40], v[45:46], 1.0
	v_fma_f64 v[45:46], v[45:46], v[47:48], v[45:46]
	v_fma_f64 v[47:48], -v[39:40], v[45:46], 1.0
	v_fma_f64 v[45:46], v[45:46], v[47:48], v[45:46]
	v_mul_f64 v[47:48], v[94:95], v[45:46]
	v_fma_f64 v[39:40], -v[39:40], v[47:48], v[94:95]
	v_div_fmas_f64 v[39:40], v[39:40], v[45:46], v[47:48]
	v_div_fixup_f64 v[29:30], v[39:40], v[43:44], v[29:30]
	v_mul_f64 v[39:40], v[3:4], v[27:28]
	v_add_f64 v[29:30], s[18:19], v[29:30]
	v_div_scale_f64 v[45:46], null, v[29:30], v[29:30], v[39:40]
	v_rcp_f64_e32 v[47:48], v[45:46]
	v_fma_f64 v[94:95], -v[45:46], v[47:48], 1.0
	v_fma_f64 v[47:48], v[47:48], v[94:95], v[47:48]
	v_fma_f64 v[94:95], -v[45:46], v[47:48], 1.0
	v_fma_f64 v[47:48], v[47:48], v[94:95], v[47:48]
	v_div_scale_f64 v[94:95], vcc_lo, v[39:40], v[29:30], v[39:40]
	v_mul_f64 v[96:97], v[94:95], v[47:48]
	v_fma_f64 v[45:46], -v[45:46], v[96:97], v[94:95]
	v_div_fmas_f64 v[45:46], v[45:46], v[47:48], v[96:97]
	v_div_fixup_f64 v[29:30], v[45:46], v[29:30], v[39:40]
	v_add_f64 v[15:16], v[15:16], -v[29:30]
	v_add_co_u32 v29, vcc_lo, v1, s6
	v_add_co_ci_u32_e64 v30, null, s7, v65, vcc_lo
	global_store_dwordx2 v[29:30], v[15:16], off
.LBB1_62:                               ;   in Loop: Header=BB1_24 Depth=1
	s_or_b32 exec_lo, exec_lo, s22
	s_andn2_b32 vcc_lo, exec_lo, s33
	s_cbranch_vccnz .LBB1_69
; %bb.63:                               ;   in Loop: Header=BB1_24 Depth=1
	s_and_saveexec_b32 s22, s2
	s_cbranch_execnz .LBB1_95
; %bb.64:                               ;   in Loop: Header=BB1_24 Depth=1
	s_or_b32 exec_lo, exec_lo, s22
	s_and_saveexec_b32 s22, s3
	s_cbranch_execnz .LBB1_96
.LBB1_65:                               ;   in Loop: Header=BB1_24 Depth=1
	s_or_b32 exec_lo, exec_lo, s22
	s_and_saveexec_b32 s22, s4
	s_cbranch_execnz .LBB1_97
.LBB1_66:                               ;   in Loop: Header=BB1_24 Depth=1
	s_or_b32 exec_lo, exec_lo, s22
	s_and_saveexec_b32 s22, s5
	s_cbranch_execz .LBB1_68
.LBB1_67:                               ;   in Loop: Header=BB1_24 Depth=1
	v_add_co_u32 v5, vcc_lo, v66, s6
	v_add_co_ci_u32_e64 v6, null, s7, v67, vcc_lo
	global_store_dwordx2 v[5:6], v[11:12], off
.LBB1_68:                               ;   in Loop: Header=BB1_24 Depth=1
	s_or_b32 exec_lo, exec_lo, s22
.LBB1_69:                               ;   in Loop: Header=BB1_24 Depth=1
	s_and_saveexec_b32 s22, s2
	s_cbranch_execnz .LBB1_83
; %bb.70:                               ;   in Loop: Header=BB1_24 Depth=1
	s_or_b32 exec_lo, exec_lo, s22
	s_and_saveexec_b32 s22, s3
	s_cbranch_execnz .LBB1_84
.LBB1_71:                               ;   in Loop: Header=BB1_24 Depth=1
	s_or_b32 exec_lo, exec_lo, s22
	s_and_saveexec_b32 s22, s4
	s_cbranch_execnz .LBB1_85
.LBB1_72:                               ;   in Loop: Header=BB1_24 Depth=1
	s_or_b32 exec_lo, exec_lo, s22
	s_and_saveexec_b32 s22, s5
	s_cbranch_execnz .LBB1_86
.LBB1_73:                               ;   in Loop: Header=BB1_24 Depth=1
	s_or_b32 exec_lo, exec_lo, s22
	s_and_saveexec_b32 s22, s2
	s_cbranch_execnz .LBB1_87
.LBB1_74:                               ;   in Loop: Header=BB1_24 Depth=1
	s_or_b32 exec_lo, exec_lo, s22
	s_and_saveexec_b32 s22, s3
	s_cbranch_execnz .LBB1_88
.LBB1_75:                               ;   in Loop: Header=BB1_24 Depth=1
	s_or_b32 exec_lo, exec_lo, s22
	s_and_saveexec_b32 s22, s4
	s_cbranch_execnz .LBB1_89
.LBB1_76:                               ;   in Loop: Header=BB1_24 Depth=1
	s_or_b32 exec_lo, exec_lo, s22
	s_and_saveexec_b32 s22, s5
	s_cbranch_execnz .LBB1_90
.LBB1_77:                               ;   in Loop: Header=BB1_24 Depth=1
	s_or_b32 exec_lo, exec_lo, s22
	s_and_saveexec_b32 s22, s2
	s_cbranch_execnz .LBB1_91
.LBB1_78:                               ;   in Loop: Header=BB1_24 Depth=1
	s_or_b32 exec_lo, exec_lo, s22
	s_and_saveexec_b32 s2, s3
	s_cbranch_execnz .LBB1_92
.LBB1_79:                               ;   in Loop: Header=BB1_24 Depth=1
	s_or_b32 exec_lo, exec_lo, s2
	s_and_saveexec_b32 s2, s4
	s_cbranch_execnz .LBB1_93
.LBB1_80:                               ;   in Loop: Header=BB1_24 Depth=1
	s_or_b32 exec_lo, exec_lo, s2
	s_and_saveexec_b32 s2, s5
	s_cbranch_execz .LBB1_23
	s_branch .LBB1_94
.LBB1_81:                               ;   in Loop: Header=BB1_24 Depth=1
	v_add_co_u32 v23, vcc_lo, v68, s6
	v_add_co_ci_u32_e64 v24, null, s7, v69, vcc_lo
	v_add_co_u32 v31, vcc_lo, v70, s6
	v_add_co_ci_u32_e64 v32, null, s7, v71, vcc_lo
	global_load_dwordx2 v[29:30], v[23:24], off
	global_load_dwordx2 v[31:32], v[31:32], off
	s_or_b32 exec_lo, exec_lo, s22
	s_and_saveexec_b32 s22, s5
	s_cbranch_execz .LBB1_46
.LBB1_82:                               ;   in Loop: Header=BB1_24 Depth=1
	v_add_co_u32 v23, vcc_lo, v72, s6
	v_add_co_ci_u32_e64 v24, null, s7, v73, vcc_lo
	global_load_dwordx2 v[27:28], v[23:24], off
	s_or_b32 exec_lo, exec_lo, s22
	s_andn2_b32 vcc_lo, exec_lo, s33
	s_cbranch_vccz .LBB1_47
	s_branch .LBB1_48
.LBB1_83:                               ;   in Loop: Header=BB1_24 Depth=1
	v_add_co_u32 v5, vcc_lo, v53, s6
	v_add_co_ci_u32_e64 v6, null, s7, v54, vcc_lo
	global_store_dwordx2 v[5:6], v[37:38], off
	s_or_b32 exec_lo, exec_lo, s22
	s_and_saveexec_b32 s22, s3
	s_cbranch_execz .LBB1_71
.LBB1_84:                               ;   in Loop: Header=BB1_24 Depth=1
	v_add_co_u32 v5, vcc_lo, v88, s6
	v_add_co_ci_u32_e64 v6, null, s7, v89, vcc_lo
	global_store_dwordx2 v[5:6], v[35:36], off
	s_or_b32 exec_lo, exec_lo, s22
	s_and_saveexec_b32 s22, s4
	s_cbranch_execz .LBB1_72
.LBB1_85:                               ;   in Loop: Header=BB1_24 Depth=1
	v_add_co_u32 v5, vcc_lo, v78, s6
	v_add_co_ci_u32_e64 v6, null, s7, v79, vcc_lo
	global_store_dwordx2 v[5:6], v[33:34], off
	s_or_b32 exec_lo, exec_lo, s22
	s_and_saveexec_b32 s22, s5
	s_cbranch_execz .LBB1_73
.LBB1_86:                               ;   in Loop: Header=BB1_24 Depth=1
	v_add_co_u32 v5, vcc_lo, v68, s6
	v_add_co_ci_u32_e64 v6, null, s7, v69, vcc_lo
	global_store_dwordx2 v[5:6], v[27:28], off
	s_or_b32 exec_lo, exec_lo, s22
	s_and_saveexec_b32 s22, s2
	s_cbranch_execz .LBB1_74
.LBB1_87:                               ;   in Loop: Header=BB1_24 Depth=1
	v_add_co_u32 v5, vcc_lo, v55, s6
	v_add_co_ci_u32_e64 v6, null, s7, v56, vcc_lo
	global_store_dwordx2 v[5:6], v[23:24], off
	s_or_b32 exec_lo, exec_lo, s22
	s_and_saveexec_b32 s22, s3
	s_cbranch_execz .LBB1_75
.LBB1_88:                               ;   in Loop: Header=BB1_24 Depth=1
	v_add_co_u32 v5, vcc_lo, v90, s6
	v_add_co_ci_u32_e64 v6, null, s7, v91, vcc_lo
	global_store_dwordx2 v[5:6], v[41:42], off
	s_or_b32 exec_lo, exec_lo, s22
	s_and_saveexec_b32 s22, s4
	s_cbranch_execz .LBB1_76
.LBB1_89:                               ;   in Loop: Header=BB1_24 Depth=1
	v_add_co_u32 v5, vcc_lo, v80, s6
	v_add_co_ci_u32_e64 v6, null, s7, v81, vcc_lo
	global_store_dwordx2 v[5:6], v[25:26], off
	s_or_b32 exec_lo, exec_lo, s22
	s_and_saveexec_b32 s22, s5
	s_cbranch_execz .LBB1_77
.LBB1_90:                               ;   in Loop: Header=BB1_24 Depth=1
	v_add_co_u32 v5, vcc_lo, v70, s6
	v_add_co_ci_u32_e64 v6, null, s7, v71, vcc_lo
	global_store_dwordx2 v[5:6], v[31:32], off
	s_or_b32 exec_lo, exec_lo, s22
	s_and_saveexec_b32 s22, s2
	s_cbranch_execz .LBB1_78
.LBB1_91:                               ;   in Loop: Header=BB1_24 Depth=1
	v_add_co_u32 v5, vcc_lo, v57, s6
	v_add_co_ci_u32_e64 v6, null, s7, v58, vcc_lo
	global_store_dwordx2 v[5:6], v[13:14], off
	s_or_b32 exec_lo, exec_lo, s22
	s_and_saveexec_b32 s2, s3
	s_cbranch_execz .LBB1_79
.LBB1_92:                               ;   in Loop: Header=BB1_24 Depth=1
	v_add_co_u32 v5, vcc_lo, v92, s6
	v_add_co_ci_u32_e64 v6, null, s7, v93, vcc_lo
	global_store_dwordx2 v[5:6], v[21:22], off
	s_or_b32 exec_lo, exec_lo, s2
	s_and_saveexec_b32 s2, s4
	s_cbranch_execz .LBB1_80
.LBB1_93:                               ;   in Loop: Header=BB1_24 Depth=1
	v_add_co_u32 v5, vcc_lo, v82, s6
	v_add_co_ci_u32_e64 v6, null, s7, v83, vcc_lo
	global_store_dwordx2 v[5:6], v[19:20], off
	s_or_b32 exec_lo, exec_lo, s2
	s_and_saveexec_b32 s2, s5
	s_cbranch_execz .LBB1_23
.LBB1_94:                               ;   in Loop: Header=BB1_24 Depth=1
	v_add_co_u32 v5, vcc_lo, v72, s6
	v_add_co_ci_u32_e64 v6, null, s7, v73, vcc_lo
	global_store_dwordx2 v[5:6], v[17:18], off
	s_branch .LBB1_23
.LBB1_95:                               ;   in Loop: Header=BB1_24 Depth=1
	v_add_co_u32 v15, vcc_lo, v51, s6
	v_add_co_ci_u32_e64 v16, null, s7, v52, vcc_lo
	global_store_dwordx2 v[15:16], v[5:6], off
	s_or_b32 exec_lo, exec_lo, s22
	s_and_saveexec_b32 s22, s3
	s_cbranch_execz .LBB1_65
.LBB1_96:                               ;   in Loop: Header=BB1_24 Depth=1
	v_add_co_u32 v5, vcc_lo, v86, s6
	v_add_co_ci_u32_e64 v6, null, s7, v87, vcc_lo
	global_store_dwordx2 v[5:6], v[7:8], off
	s_or_b32 exec_lo, exec_lo, s22
	s_and_saveexec_b32 s22, s4
	s_cbranch_execz .LBB1_66
.LBB1_97:                               ;   in Loop: Header=BB1_24 Depth=1
	v_add_co_u32 v5, vcc_lo, v76, s6
	v_add_co_ci_u32_e64 v6, null, s7, v77, vcc_lo
	global_store_dwordx2 v[5:6], v[9:10], off
	s_or_b32 exec_lo, exec_lo, s22
	s_and_saveexec_b32 s22, s5
	s_cbranch_execnz .LBB1_67
	s_branch .LBB1_68
.LBB1_98:
	s_endpgm
	.section	.rodata,"a",@progbits
	.p2align	6, 0x0
	.amdhsa_kernel _ZN2at6native12_GLOBAL__N_125multi_tensor_apply_kernelINS1_32FusedOptimizerTensorListMetadataILi5EEENS1_20FusedAdamMathFunctorIdLi5ELNS0_9ADAM_MODEE0ELb1EEEJPKfdddddbS9_S9_EEEvT_T0_DpT1_
		.amdhsa_group_segment_fixed_size 0
		.amdhsa_private_segment_fixed_size 0
		.amdhsa_kernarg_size 3624
		.amdhsa_user_sgpr_count 6
		.amdhsa_user_sgpr_private_segment_buffer 1
		.amdhsa_user_sgpr_dispatch_ptr 0
		.amdhsa_user_sgpr_queue_ptr 0
		.amdhsa_user_sgpr_kernarg_segment_ptr 1
		.amdhsa_user_sgpr_dispatch_id 0
		.amdhsa_user_sgpr_flat_scratch_init 0
		.amdhsa_user_sgpr_private_segment_size 0
		.amdhsa_wavefront_size32 1
		.amdhsa_uses_dynamic_stack 0
		.amdhsa_system_sgpr_private_segment_wavefront_offset 0
		.amdhsa_system_sgpr_workgroup_id_x 1
		.amdhsa_system_sgpr_workgroup_id_y 0
		.amdhsa_system_sgpr_workgroup_id_z 0
		.amdhsa_system_sgpr_workgroup_info 0
		.amdhsa_system_vgpr_workitem_id 0
		.amdhsa_next_free_vgpr 104
		.amdhsa_next_free_sgpr 79
		.amdhsa_reserve_vcc 1
		.amdhsa_reserve_flat_scratch 0
		.amdhsa_float_round_mode_32 0
		.amdhsa_float_round_mode_16_64 0
		.amdhsa_float_denorm_mode_32 3
		.amdhsa_float_denorm_mode_16_64 3
		.amdhsa_dx10_clamp 1
		.amdhsa_ieee_mode 1
		.amdhsa_fp16_overflow 0
		.amdhsa_workgroup_processor_mode 1
		.amdhsa_memory_ordered 1
		.amdhsa_forward_progress 1
		.amdhsa_shared_vgpr_count 0
		.amdhsa_exception_fp_ieee_invalid_op 0
		.amdhsa_exception_fp_denorm_src 0
		.amdhsa_exception_fp_ieee_div_zero 0
		.amdhsa_exception_fp_ieee_overflow 0
		.amdhsa_exception_fp_ieee_underflow 0
		.amdhsa_exception_fp_ieee_inexact 0
		.amdhsa_exception_int_div_zero 0
	.end_amdhsa_kernel
	.section	.text._ZN2at6native12_GLOBAL__N_125multi_tensor_apply_kernelINS1_32FusedOptimizerTensorListMetadataILi5EEENS1_20FusedAdamMathFunctorIdLi5ELNS0_9ADAM_MODEE0ELb1EEEJPKfdddddbS9_S9_EEEvT_T0_DpT1_,"axG",@progbits,_ZN2at6native12_GLOBAL__N_125multi_tensor_apply_kernelINS1_32FusedOptimizerTensorListMetadataILi5EEENS1_20FusedAdamMathFunctorIdLi5ELNS0_9ADAM_MODEE0ELb1EEEJPKfdddddbS9_S9_EEEvT_T0_DpT1_,comdat
.Lfunc_end1:
	.size	_ZN2at6native12_GLOBAL__N_125multi_tensor_apply_kernelINS1_32FusedOptimizerTensorListMetadataILi5EEENS1_20FusedAdamMathFunctorIdLi5ELNS0_9ADAM_MODEE0ELb1EEEJPKfdddddbS9_S9_EEEvT_T0_DpT1_, .Lfunc_end1-_ZN2at6native12_GLOBAL__N_125multi_tensor_apply_kernelINS1_32FusedOptimizerTensorListMetadataILi5EEENS1_20FusedAdamMathFunctorIdLi5ELNS0_9ADAM_MODEE0ELb1EEEJPKfdddddbS9_S9_EEEvT_T0_DpT1_
                                        ; -- End function
	.set _ZN2at6native12_GLOBAL__N_125multi_tensor_apply_kernelINS1_32FusedOptimizerTensorListMetadataILi5EEENS1_20FusedAdamMathFunctorIdLi5ELNS0_9ADAM_MODEE0ELb1EEEJPKfdddddbS9_S9_EEEvT_T0_DpT1_.num_vgpr, 104
	.set _ZN2at6native12_GLOBAL__N_125multi_tensor_apply_kernelINS1_32FusedOptimizerTensorListMetadataILi5EEENS1_20FusedAdamMathFunctorIdLi5ELNS0_9ADAM_MODEE0ELb1EEEJPKfdddddbS9_S9_EEEvT_T0_DpT1_.num_agpr, 0
	.set _ZN2at6native12_GLOBAL__N_125multi_tensor_apply_kernelINS1_32FusedOptimizerTensorListMetadataILi5EEENS1_20FusedAdamMathFunctorIdLi5ELNS0_9ADAM_MODEE0ELb1EEEJPKfdddddbS9_S9_EEEvT_T0_DpT1_.numbered_sgpr, 79
	.set _ZN2at6native12_GLOBAL__N_125multi_tensor_apply_kernelINS1_32FusedOptimizerTensorListMetadataILi5EEENS1_20FusedAdamMathFunctorIdLi5ELNS0_9ADAM_MODEE0ELb1EEEJPKfdddddbS9_S9_EEEvT_T0_DpT1_.num_named_barrier, 0
	.set _ZN2at6native12_GLOBAL__N_125multi_tensor_apply_kernelINS1_32FusedOptimizerTensorListMetadataILi5EEENS1_20FusedAdamMathFunctorIdLi5ELNS0_9ADAM_MODEE0ELb1EEEJPKfdddddbS9_S9_EEEvT_T0_DpT1_.private_seg_size, 0
	.set _ZN2at6native12_GLOBAL__N_125multi_tensor_apply_kernelINS1_32FusedOptimizerTensorListMetadataILi5EEENS1_20FusedAdamMathFunctorIdLi5ELNS0_9ADAM_MODEE0ELb1EEEJPKfdddddbS9_S9_EEEvT_T0_DpT1_.uses_vcc, 1
	.set _ZN2at6native12_GLOBAL__N_125multi_tensor_apply_kernelINS1_32FusedOptimizerTensorListMetadataILi5EEENS1_20FusedAdamMathFunctorIdLi5ELNS0_9ADAM_MODEE0ELb1EEEJPKfdddddbS9_S9_EEEvT_T0_DpT1_.uses_flat_scratch, 0
	.set _ZN2at6native12_GLOBAL__N_125multi_tensor_apply_kernelINS1_32FusedOptimizerTensorListMetadataILi5EEENS1_20FusedAdamMathFunctorIdLi5ELNS0_9ADAM_MODEE0ELb1EEEJPKfdddddbS9_S9_EEEvT_T0_DpT1_.has_dyn_sized_stack, 0
	.set _ZN2at6native12_GLOBAL__N_125multi_tensor_apply_kernelINS1_32FusedOptimizerTensorListMetadataILi5EEENS1_20FusedAdamMathFunctorIdLi5ELNS0_9ADAM_MODEE0ELb1EEEJPKfdddddbS9_S9_EEEvT_T0_DpT1_.has_recursion, 0
	.set _ZN2at6native12_GLOBAL__N_125multi_tensor_apply_kernelINS1_32FusedOptimizerTensorListMetadataILi5EEENS1_20FusedAdamMathFunctorIdLi5ELNS0_9ADAM_MODEE0ELb1EEEJPKfdddddbS9_S9_EEEvT_T0_DpT1_.has_indirect_call, 0
	.section	.AMDGPU.csdata,"",@progbits
; Kernel info:
; codeLenInByte = 11736
; TotalNumSgprs: 81
; NumVgprs: 104
; ScratchSize: 0
; MemoryBound: 0
; FloatMode: 240
; IeeeMode: 1
; LDSByteSize: 0 bytes/workgroup (compile time only)
; SGPRBlocks: 0
; VGPRBlocks: 12
; NumSGPRsForWavesPerEU: 81
; NumVGPRsForWavesPerEU: 104
; Occupancy: 9
; WaveLimiterHint : 0
; COMPUTE_PGM_RSRC2:SCRATCH_EN: 0
; COMPUTE_PGM_RSRC2:USER_SGPR: 6
; COMPUTE_PGM_RSRC2:TRAP_HANDLER: 0
; COMPUTE_PGM_RSRC2:TGID_X_EN: 1
; COMPUTE_PGM_RSRC2:TGID_Y_EN: 0
; COMPUTE_PGM_RSRC2:TGID_Z_EN: 0
; COMPUTE_PGM_RSRC2:TIDIG_COMP_CNT: 0
	.section	.text._ZN2at6native12_GLOBAL__N_125multi_tensor_apply_kernelINS1_32FusedOptimizerTensorListMetadataILi5EEENS1_20FusedAdamMathFunctorIfLi5ELNS0_9ADAM_MODEE0ELb1EEEJPKfdddddbS9_S9_EEEvT_T0_DpT1_,"axG",@progbits,_ZN2at6native12_GLOBAL__N_125multi_tensor_apply_kernelINS1_32FusedOptimizerTensorListMetadataILi5EEENS1_20FusedAdamMathFunctorIfLi5ELNS0_9ADAM_MODEE0ELb1EEEJPKfdddddbS9_S9_EEEvT_T0_DpT1_,comdat
	.globl	_ZN2at6native12_GLOBAL__N_125multi_tensor_apply_kernelINS1_32FusedOptimizerTensorListMetadataILi5EEENS1_20FusedAdamMathFunctorIfLi5ELNS0_9ADAM_MODEE0ELb1EEEJPKfdddddbS9_S9_EEEvT_T0_DpT1_ ; -- Begin function _ZN2at6native12_GLOBAL__N_125multi_tensor_apply_kernelINS1_32FusedOptimizerTensorListMetadataILi5EEENS1_20FusedAdamMathFunctorIfLi5ELNS0_9ADAM_MODEE0ELb1EEEJPKfdddddbS9_S9_EEEvT_T0_DpT1_
	.p2align	8
	.type	_ZN2at6native12_GLOBAL__N_125multi_tensor_apply_kernelINS1_32FusedOptimizerTensorListMetadataILi5EEENS1_20FusedAdamMathFunctorIfLi5ELNS0_9ADAM_MODEE0ELb1EEEJPKfdddddbS9_S9_EEEvT_T0_DpT1_,@function
_ZN2at6native12_GLOBAL__N_125multi_tensor_apply_kernelINS1_32FusedOptimizerTensorListMetadataILi5EEENS1_20FusedAdamMathFunctorIfLi5ELNS0_9ADAM_MODEE0ELb1EEEJPKfdddddbS9_S9_EEEvT_T0_DpT1_: ; @_ZN2at6native12_GLOBAL__N_125multi_tensor_apply_kernelINS1_32FusedOptimizerTensorListMetadataILi5EEENS1_20FusedAdamMathFunctorIfLi5ELNS0_9ADAM_MODEE0ELb1EEEJPKfdddddbS9_S9_EEEvT_T0_DpT1_
; %bb.0:
	v_mov_b32_e32 v1, s6
	s_add_u32 s1, s4, s6
	s_mul_hi_u32 s3, s6, 3
	s_mul_i32 s6, s6, 3
	s_addc_u32 s7, s5, 0
	global_load_ubyte v1, v1, s[4:5] offset:1680
	s_clause 0x1
	s_load_dwordx8 s[8:15], s[4:5], 0xce0
	s_load_dwordx4 s[20:23], s[4:5], 0xd00
	s_add_u32 s2, s1, s6
	s_addc_u32 s3, s7, s3
	s_mov_b32 s1, 0
	s_waitcnt lgkmcnt(0)
	s_cmp_eq_u64 s[8:9], 0
	s_waitcnt vmcnt(0)
	v_readfirstlane_b32 s0, v1
	s_cbranch_scc1 .LBB2_20
; %bb.1:
	s_load_dword s6, s[8:9], 0x0
	s_waitcnt lgkmcnt(0)
	v_mov_b32_e32 v43, s6
	s_andn2_b32 vcc_lo, exec_lo, s1
	s_cbranch_vccnz .LBB2_3
.LBB2_2:
	v_cvt_f32_f64_e32 v43, s[10:11]
.LBB2_3:
	s_load_dwordx4 s[16:19], s[4:5], 0xd18
	s_waitcnt lgkmcnt(0)
	s_cmp_eq_u64 s[18:19], 0
	s_cselect_b32 s1, -1, 0
	s_and_b32 vcc_lo, exec_lo, s1
	s_cbranch_vccnz .LBB2_5
; %bb.4:
	s_load_dword s1, s[18:19], 0x0
	s_waitcnt lgkmcnt(0)
	v_cmp_neq_f32_e64 s1, s1, 1.0
.LBB2_5:
	s_andn2_b32 vcc_lo, exec_lo, s1
	s_cbranch_vccnz .LBB2_100
; %bb.6:
	s_load_dword s1, s[4:5], 0xd10
	v_cvt_f32_f64_e32 v38, s[14:15]
	v_cvt_f32_f64_e32 v39, s[12:13]
	s_mov_b32 s9, 0
	v_cvt_f32_f64_e32 v40, s[20:21]
	s_mov_b32 s31, s9
	v_cvt_f32_f64_e32 v41, s[22:23]
	s_waitcnt lgkmcnt(0)
	s_bitcmp1_b32 s1, 0
	s_cselect_b32 s33, -1, 0
	s_and_b32 s0, s0, 0xff
	v_cmp_neq_f32_e32 vcc_lo, 1.0, v38
	s_lshl_b32 s30, s0, 3
	s_clause 0x1
	s_load_dwordx2 s[0:1], s[4:5], s30 offset:0x5a0
	s_load_dwordx2 s[28:29], s[4:5], s30 offset:0x4b0
	s_waitcnt lgkmcnt(0)
	s_load_dword s0, s[0:1], 0x0
	s_mov_b32 s1, 0x3e76c4e1
	s_clause 0x4
	s_load_dword s24, s[2:3], 0x7d0
	s_load_dwordx2 s[14:15], s[4:5], s30 offset:0x0
	s_load_dwordx2 s[12:13], s[4:5], s30 offset:0xf0
	;; [unrolled: 1-line block ×4, first 2 shown]
	s_waitcnt lgkmcnt(0)
	v_cndmask_b32_e64 v5, 1.0, s0, vcc_lo
	v_cmp_neq_f32_e32 vcc_lo, 1.0, v39
	s_ashr_i32 s25, s24, 31
	s_lshl_b64 s[26:27], s[24:25], 16
	v_cmp_neq_f32_e64 s34, v5, |v5|
	v_cndmask_b32_e64 v6, 1.0, s0, vcc_lo
	v_cmp_neq_f32_e32 vcc_lo, 0, v5
	v_cmp_neq_f32_e64 s8, v6, |v6|
	v_cndmask_b32_e32 v7, 1.0, v38, vcc_lo
	v_cmp_neq_f32_e32 vcc_lo, 0, v6
	v_frexp_mant_f32_e64 v1, |v7|
	v_cndmask_b32_e32 v8, 1.0, v39, vcc_lo
	v_cmp_lt_f32_e64 s37, |v7|, 1.0
	v_cmp_class_f32_e64 s38, v7, 0x204
	v_cmp_gt_f32_e32 vcc_lo, 0x3f2aaaab, v1
	v_frexp_mant_f32_e64 v2, |v8|
	v_cmp_lt_f32_e64 s35, |v8|, 1.0
	v_cmp_class_f32_e64 s36, v8, 0x204
	v_cndmask_b32_e64 v3, 1.0, 2.0, vcc_lo
	v_cmp_gt_f32_e64 s0, 0x3f2aaaab, v2
	s_xor_b32 s8, s8, s35
	v_mul_f32_e32 v1, v1, v3
	v_cndmask_b32_e64 v4, 1.0, 2.0, s0
	v_add_f32_e32 v3, 1.0, v1
	v_mul_f32_e32 v2, v2, v4
	v_add_f32_e32 v11, -1.0, v1
	v_rcp_f32_e32 v9, v3
	v_add_f32_e32 v4, 1.0, v2
	v_add_f32_e32 v12, -1.0, v2
	v_add_f32_e32 v15, -1.0, v3
	v_rcp_f32_e32 v10, v4
	v_add_f32_e32 v17, -1.0, v4
	v_sub_f32_e32 v1, v1, v15
	v_mul_f32_e32 v13, v11, v9
	v_sub_f32_e32 v2, v2, v17
	v_mul_f32_e32 v16, v3, v13
	v_mul_f32_e32 v14, v12, v10
	v_fma_f32 v3, v13, v3, -v16
	v_mul_f32_e32 v18, v4, v14
	v_fmac_f32_e32 v3, v13, v1
	v_fma_f32 v4, v14, v4, -v18
	v_add_f32_e32 v1, v16, v3
	v_fmac_f32_e32 v4, v14, v2
	v_sub_f32_e32 v15, v11, v1
	v_add_f32_e32 v2, v18, v4
	v_sub_f32_e32 v16, v1, v16
	v_sub_f32_e32 v11, v11, v15
	;; [unrolled: 1-line block ×8, first 2 shown]
	v_add_f32_e32 v1, v3, v1
	v_sub_f32_e32 v2, v12, v2
	v_add_f32_e32 v1, v15, v1
	v_add_f32_e32 v2, v4, v2
	v_mul_f32_e32 v1, v9, v1
	v_add_f32_e32 v2, v17, v2
	v_add_f32_e32 v9, v13, v1
	v_mul_f32_e32 v2, v10, v2
	v_sub_f32_e32 v3, v9, v13
	v_add_f32_e32 v10, v14, v2
	v_mul_f32_e32 v11, v9, v9
	v_sub_f32_e32 v12, v1, v3
	v_sub_f32_e32 v4, v10, v14
	v_mul_f32_e32 v3, v10, v10
	v_add_f32_e32 v1, v12, v12
	v_sub_f32_e32 v13, v2, v4
	v_fma_f32 v4, v9, v9, -v11
	v_fma_f32 v14, v10, v10, -v3
	v_add_f32_e32 v2, v13, v13
	v_fmac_f32_e32 v4, v9, v1
	v_fmac_f32_e32 v14, v10, v2
	v_add_f32_e32 v15, v11, v4
	v_cvt_f64_f32_e64 v[1:2], |v8|
	v_add_f32_e32 v16, v3, v14
	v_fmaak_f32 v17, s1, v15, 0x3e91f4c4
	v_sub_f32_e32 v11, v15, v11
	v_mul_f32_e32 v23, v9, v15
	v_fmaak_f32 v18, s1, v16, 0x3e91f4c4
	v_fmaak_f32 v17, v15, v17, 0x3ecccdef
	v_sub_f32_e32 v11, v4, v11
	v_sub_f32_e32 v3, v16, v3
	v_fma_f32 v27, v15, v9, -v23
	v_fmaak_f32 v18, v16, v18, 0x3ecccdef
	v_mul_f32_e32 v19, v15, v17
	v_sub_f32_e32 v14, v14, v3
	v_cvt_f64_f32_e64 v[3:4], |v7|
	v_mul_f32_e32 v20, v16, v18
	v_fma_f32 v21, v15, v17, -v19
	v_fmac_f32_e32 v27, v15, v12
	v_ldexp_f32 v12, v12, 1
	v_frexp_exp_i32_f64_e32 v1, v[1:2]
	v_fma_f32 v22, v16, v18, -v20
	v_fmac_f32_e32 v21, v11, v17
	v_mul_f32_e32 v2, v10, v16
	v_fmac_f32_e32 v27, v11, v9
	v_fmac_f32_e32 v22, v14, v18
	v_add_f32_e32 v17, v19, v21
	v_fma_f32 v25, v16, v10, -v2
	v_add_f32_e32 v18, v20, v22
	v_sub_f32_e32 v19, v17, v19
	v_add_f32_e32 v24, 0x3f2aaaaa, v17
	v_fmac_f32_e32 v25, v16, v13
	v_ldexp_f32 v13, v13, 1
	v_sub_f32_e32 v20, v18, v20
	v_sub_f32_e32 v19, v21, v19
	v_add_f32_e32 v21, 0xbf2aaaaa, v24
	v_add_f32_e32 v26, 0x3f2aaaaa, v18
	v_fmac_f32_e32 v25, v14, v10
	v_sub_f32_e32 v20, v22, v20
	v_add_f32_e32 v19, 0x31739010, v19
	v_sub_f32_e32 v17, v17, v21
	v_add_f32_e32 v22, 0xbf2aaaaa, v26
	v_add_f32_e32 v14, v23, v27
	;; [unrolled: 1-line block ×3, first 2 shown]
	v_frexp_exp_i32_f64_e32 v3, v[3:4]
	v_add_f32_e32 v17, v19, v17
	v_sub_f32_e32 v16, v18, v22
	v_add_f32_e32 v19, v2, v25
	v_sub_f32_e32 v20, v14, v23
	v_subrev_co_ci_u32_e64 v1, null, 0, v1, s0
	v_add_f32_e32 v11, v24, v17
	v_add_f32_e32 v4, v15, v16
	v_sub_f32_e32 v20, v27, v20
	v_sub_f32_e32 v2, v19, v2
	v_ldexp_f32 v10, v10, 1
	v_sub_f32_e32 v16, v24, v11
	v_mul_f32_e32 v18, v14, v11
	v_add_f32_e32 v15, v26, v4
	v_sub_f32_e32 v2, v25, v2
	v_cvt_f32_i32_e32 v1, v1
	v_add_f32_e32 v16, v17, v16
	v_fma_f32 v17, v14, v11, -v18
	v_sub_f32_e32 v21, v26, v15
	v_mul_f32_e32 v22, v19, v15
	v_subrev_co_ci_u32_e64 v3, null, 0, v3, vcc_lo
	v_fmac_f32_e32 v17, v14, v16
	v_add_f32_e32 v4, v4, v21
	v_fma_f32 v14, v19, v15, -v22
	v_cvt_f32_i32_e32 v3, v3
	v_cmp_gt_f32_e32 vcc_lo, 0, v6
	v_fmac_f32_e32 v17, v20, v11
	v_mul_f32_e32 v11, 0x3f317218, v1
	v_fmac_f32_e32 v14, v19, v4
	v_ldexp_f32 v4, v9, 1
	v_add_f32_e32 v9, v18, v17
	v_fmac_f32_e32 v14, v2, v15
	v_mul_f32_e32 v2, 0x3f317218, v3
	v_add_f32_e32 v15, v4, v9
	v_sub_f32_e32 v16, v9, v18
	v_add_f32_e32 v18, v22, v14
	v_fma_f32 v19, 0x3f317218, v3, -v2
	v_sub_f32_e32 v4, v15, v4
	v_sub_f32_e32 v16, v17, v16
	v_add_f32_e32 v17, v10, v18
	v_sub_f32_e32 v20, v18, v22
	v_fmac_f32_e32 v19, 0xb102e308, v3
	v_sub_f32_e32 v4, v9, v4
	v_add_f32_e32 v9, v12, v16
	v_sub_f32_e32 v10, v17, v10
	v_sub_f32_e32 v12, v14, v20
	v_fma_f32 v14, 0x3f317218, v1, -v11
	v_add_f32_e32 v3, v9, v4
	v_sub_f32_e32 v4, v18, v10
	v_add_f32_e32 v9, v13, v12
	v_add_f32_e32 v10, v2, v19
	v_fmac_f32_e32 v14, 0xb102e308, v1
	v_add_f32_e32 v12, v15, v3
	v_add_f32_e32 v1, v9, v4
	v_sub_f32_e32 v2, v10, v2
	v_add_f32_e32 v9, v11, v14
	v_add_f32_e32 v4, v10, v12
	v_sub_f32_e32 v15, v12, v15
	v_add_f32_e32 v13, v17, v1
	v_sub_f32_e32 v2, v19, v2
	v_sub_f32_e32 v11, v9, v11
	;; [unrolled: 1-line block ×4, first 2 shown]
	v_add_f32_e32 v18, v9, v13
	v_sub_f32_e32 v15, v13, v17
	v_sub_f32_e32 v11, v14, v11
	;; [unrolled: 1-line block ×5, first 2 shown]
	v_add_f32_e32 v16, v2, v3
	v_sub_f32_e32 v1, v1, v15
	v_sub_f32_e32 v10, v10, v20
	;; [unrolled: 1-line block ×3, first 2 shown]
	v_add_f32_e32 v10, v12, v10
	v_sub_f32_e32 v12, v13, v19
	v_sub_f32_e32 v9, v9, v14
	;; [unrolled: 1-line block ×3, first 2 shown]
	v_add_f32_e32 v14, v11, v1
	v_add_f32_e32 v10, v16, v10
	;; [unrolled: 1-line block ×3, first 2 shown]
	v_sub_f32_e32 v12, v16, v13
	v_sub_f32_e32 v16, v14, v11
	v_add_f32_e32 v15, v4, v10
	v_sub_f32_e32 v3, v3, v13
	v_add_f32_e32 v9, v14, v9
	v_sub_f32_e32 v2, v2, v12
	v_sub_f32_e32 v12, v14, v16
	;; [unrolled: 1-line block ×4, first 2 shown]
	v_add_f32_e32 v13, v18, v9
	v_add_f32_e32 v2, v3, v2
	v_mul_f32_e32 v14, 0.5, v5
	v_sub_f32_e32 v3, v10, v4
	v_sub_f32_e32 v4, v11, v12
	;; [unrolled: 1-line block ×3, first 2 shown]
	v_trunc_f32_e32 v11, v6
	v_trunc_f32_e32 v20, v14
	v_add_f32_e32 v2, v2, v3
	v_add_f32_e32 v1, v1, v4
	v_sub_f32_e32 v3, v9, v10
	v_cmp_eq_f32_e64 s1, v11, v6
	v_add_f32_e32 v4, v15, v2
	v_add_f32_e32 v1, v1, v3
	v_sub_f32_e32 v3, v4, v15
	v_mul_f32_e32 v9, v5, v4
	v_add_f32_e32 v10, v13, v1
	v_sub_f32_e32 v2, v2, v3
	v_fma_f32 v3, v5, v4, -v9
	v_sub_f32_e32 v12, v10, v13
	v_mul_f32_e32 v13, v6, v10
	v_cmp_class_f32_e64 s0, v9, 0x204
	v_mul_f32_e32 v4, 0.5, v6
	v_fmac_f32_e32 v3, v5, v2
	v_sub_f32_e32 v1, v1, v12
	v_fma_f32 v2, v6, v10, -v13
	v_trunc_f32_e32 v10, v5
	v_trunc_f32_e32 v11, v4
	v_add_f32_e32 v12, v9, v3
	v_fmac_f32_e32 v2, v6, v1
	v_cmp_eq_f32_e64 s3, v10, v5
	v_cmp_neq_f32_e64 s7, v11, v4
	v_cndmask_b32_e64 v1, v12, v9, s0
	v_sub_f32_e32 v9, v12, v9
	v_add_f32_e32 v15, v13, v2
	v_cmp_gt_f32_e64 s0, 0, v5
	v_cmp_eq_f32_e64 s2, 0x42b17218, v1
	v_sub_f32_e32 v3, v3, v9
	v_cndmask_b32_e64 v16, 0, 0x37000000, s2
	v_cmp_class_f32_e64 s2, v13, 0x204
	v_sub_f32_e32 v18, v1, v16
	v_cndmask_b32_e64 v17, v15, v13, s2
	v_cmp_eq_f32_e64 s2, 0, v8
	v_sub_f32_e32 v13, v15, v13
	v_mul_f32_e32 v19, 0x3fb8aa3b, v18
	v_cmp_eq_f32_e64 s6, 0x42b17218, v17
	v_sub_f32_e32 v2, v2, v13
	v_fma_f32 v22, 0x3fb8aa3b, v18, -v19
	v_cndmask_b32_e64 v10, 0, 0x37000000, s6
	v_rndne_f32_e32 v23, v19
	v_cmp_eq_f32_e64 s6, 0, v7
	v_fmac_f32_e32 v22, 0x32a5705f, v18
	v_sub_f32_e32 v21, v17, v10
	v_sub_f32_e32 v11, v19, v23
	v_cndmask_b32_e64 v19, 0x7f800000, 0, s8
	s_xor_b32 s8, vcc_lo, s2
	v_cmp_neq_f32_e32 vcc_lo, v20, v14
	v_mul_f32_e32 v4, 0x3fb8aa3b, v21
	v_add_f32_e32 v11, v11, v22
	v_cndmask_b32_e64 v22, 0x7f800000, 0, s8
	s_xor_b32 s8, s34, s37
	v_cvt_i32_f32_e32 v12, v23
	v_fma_f32 v24, 0x3fb8aa3b, v21, -v4
	v_rndne_f32_e32 v25, v4
	v_exp_f32_e32 v11, v11
	v_cndmask_b32_e64 v14, 0x7f800000, 0, s8
	v_cmp_neq_f32_e64 s8, 0x7f800000, |v1|
	v_fmac_f32_e32 v24, 0x32a5705f, v21
	v_sub_f32_e32 v4, v4, v25
	s_and_b32 vcc_lo, s3, vcc_lo
	s_xor_b32 s0, s0, s6
	v_cndmask_b32_e64 v1, 0, v3, s8
	v_cmp_ngt_f32_e64 s8, 0xc2ce8ed0, v18
	v_add_f32_e32 v4, v4, v24
	v_ldexp_f32 v9, v11, v12
	v_cvt_i32_f32_e32 v3, v25
	v_add_f32_e32 v1, v16, v1
	v_exp_f32_e32 v4, v4
	v_cndmask_b32_e64 v9, 0, v9, s8
	v_cmp_neq_f32_e64 s8, 0x7f800000, |v17|
	v_cndmask_b32_e64 v2, 0, v2, s8
	v_cmp_nlt_f32_e64 s8, 0x42b17218, v18
	v_ldexp_f32 v3, v4, v3
	v_add_f32_e32 v2, v10, v2
	v_cndmask_b32_e64 v4, 0x7f800000, v9, s8
	v_cmp_ngt_f32_e64 s8, 0xc2ce8ed0, v21
	v_cndmask_b32_e32 v9, 1.0, v7, vcc_lo
	v_fma_f32 v1, v4, v1, v4
	v_cndmask_b32_e64 v3, 0, v3, s8
	v_cmp_nlt_f32_e64 s8, 0x42b17218, v21
	v_cndmask_b32_e64 v3, 0x7f800000, v3, s8
	v_cmp_class_f32_e64 s8, v4, 0x204
	v_fma_f32 v2, v3, v2, v3
	v_cndmask_b32_e64 v1, v1, v4, s8
	v_cndmask_b32_e64 v4, 0x7f800000, 0, s0
	s_and_b32 s0, s1, s7
	v_cmp_class_f32_e64 s7, v3, 0x204
	v_cndmask_b32_e64 v10, 1.0, v8, s0
	v_bfi_b32 v1, 0x7fffffff, v1, v9
	v_cndmask_b32_e64 v2, v2, v3, s7
	v_cmp_neq_f32_e64 s7, |v8|, 1.0
	v_cndmask_b32_e64 v9, 0x7fc00000, v1, s3
	v_cmp_neq_f32_e64 s3, |v7|, 1.0
	v_bfi_b32 v2, 0x7fffffff, v2, v10
	v_cndmask_b32_e32 v10, 0, v7, vcc_lo
	v_cmp_gt_f32_e32 vcc_lo, 0, v7
	v_cndmask_b32_e64 v11, 1.0, v14, s3
	v_cndmask_b32_e64 v3, 1.0, v19, s7
	v_cndmask_b32_e64 v12, 0x7fc00000, v2, s1
	v_bfi_b32 v4, 0x7fffffff, v4, v10
	v_cndmask_b32_e32 v1, v1, v9, vcc_lo
	v_cmp_class_f32_e64 vcc_lo, v5, 0x204
	v_cndmask_b32_e64 v9, 0, v8, s0
	v_cmp_o_f32_e64 s0, v7, v5
	s_mov_b32 s3, s9
	v_cndmask_b32_e32 v1, v1, v11, vcc_lo
	v_cmp_gt_f32_e32 vcc_lo, 0, v8
	v_bfi_b32 v9, 0x7fffffff, v22, v9
	v_cndmask_b32_e32 v2, v2, v12, vcc_lo
	s_or_b32 vcc_lo, s6, s38
	v_cndmask_b32_e32 v1, v1, v4, vcc_lo
	v_cmp_class_f32_e64 vcc_lo, v6, 0x204
	v_sub_f32_e32 v1, 1.0, v1
	v_cndmask_b32_e32 v2, v2, v3, vcc_lo
	s_or_b32 vcc_lo, s2, s36
	s_sub_u32 s26, s28, s26
	s_subb_u32 s27, s29, s27
	v_cndmask_b32_e64 v1, 0x7fc00000, v1, s0
	s_lshl_b64 s[6:7], s[24:25], 18
	s_load_dwordx2 s[24:25], s[4:5], s30 offset:0x2d0
	s_add_u32 s29, s14, s6
	s_addc_u32 s34, s15, s7
	v_mul_f32_e32 v3, 0x4f800000, v1
	v_cmp_gt_f32_e64 s0, 0xf800000, v1
	s_and_b32 s8, s29, 15
	s_add_u32 s35, s12, s6
	s_addc_u32 s36, s13, s7
	s_and_b32 s30, s35, 15
	v_cndmask_b32_e64 v1, v1, v3, s0
	s_cmp_lg_u64 s[30:31], 0
	v_cndmask_b32_e32 v2, v2, v9, vcc_lo
	s_cselect_b32 s39, -1, 0
	s_add_u32 s30, s10, s6
	v_sqrt_f32_e32 v3, v1
	s_addc_u32 s31, s11, s7
	s_and_b32 s2, s30, 15
	v_sub_f32_e32 v2, 1.0, v2
	s_cmp_lg_u64 s[2:3], 0
	v_cmp_o_f32_e32 vcc_lo, v8, v6
	s_cselect_b32 s40, -1, 0
	s_waitcnt lgkmcnt(0)
	s_add_u32 s20, s24, s6
	s_addc_u32 s21, s25, s7
	s_add_u32 s37, s18, s6
	v_add_nc_u32_e32 v4, -1, v3
	v_add_nc_u32_e32 v5, 1, v3
	s_addc_u32 s38, s19, s7
	s_or_b32 s1, s37, s20
	v_cndmask_b32_e32 v44, 0x7fc00000, v2, vcc_lo
	v_fma_f32 v7, -v4, v3, v1
	s_and_b32 s1, s1, 15
	v_fma_f32 v10, -v5, v3, v1
	s_cmp_lg_u32 s1, 0
	v_cmp_class_f32_e64 vcc_lo, v1, 0x260
	v_cmp_ge_f32_e64 s1, 0, v7
	s_cselect_b32 s22, -1, 0
	s_and_b32 s2, s28, 3
	s_or_b32 s22, s22, s40
	s_or_b64 s[2:3], s[8:9], s[2:3]
	v_cndmask_b32_e64 v3, v3, v4, s1
	v_cmp_lt_f32_e64 s1, 0, v10
	v_cndmask_b32_e64 v3, v3, v5, s1
	s_or_b32 s1, s22, s39
	s_cmp_lg_u64 s[2:3], 0
	s_cselect_b32 s2, -1, 0
	v_mul_f32_e32 v4, 0x37800000, v3
	s_or_b32 s1, s1, s2
	v_cndmask_b32_e64 v3, v3, v4, s0
	s_mov_b32 s0, -1
	v_cndmask_b32_e32 v42, v3, v1, vcc_lo
	s_andn2_b32 vcc_lo, exec_lo, s1
	s_cbranch_vccz .LBB2_22
; %bb.7:
	v_cmp_gt_i64_e64 s0, 0x10000, s[26:27]
	v_mov_b32_e32 v25, 0
	v_lshlrev_b32_e32 v24, 2, v0
	s_mov_b32 s22, exec_lo
	s_and_b32 s0, s0, exec_lo
	s_cselect_b32 s9, s27, 0
	s_cselect_b32 s8, s26, 0x10000
	v_cmpx_gt_i64_e64 s[8:9], v[24:25]
	s_cbranch_execz .LBB2_21
; %bb.8:
	v_div_scale_f32 v1, null, v44, v44, v43
	v_div_scale_f32 v4, vcc_lo, v43, v44, v43
	s_load_dword s1, s[4:5], 0xd34
	v_rcp_f32_e32 v2, v1
	s_cmp_lg_u64 s[16:17], 0
	v_cmp_neq_f32_e64 s0, 0, v40
	v_lshlrev_b32_e32 v45, 4, v0
	s_cselect_b32 s23, -1, 0
	s_mov_b32 s39, 0
	v_fma_f32 v3, -v1, v2, 1.0
	v_fmac_f32_e32 v2, v3, v2
	s_waitcnt lgkmcnt(0)
	s_and_b32 s28, s1, 0xffff
	v_mul_f32_e32 v3, v4, v2
	s_lshl_b32 s40, s28, 4
	v_fma_f32 v5, -v1, v3, v4
	v_fmac_f32_e32 v3, v5, v2
	v_fma_f32 v4, -v1, v3, v4
	v_mov_b32_e32 v1, v25
	v_div_fmas_f32 v2, v4, v2, v3
	v_mov_b32_e32 v27, v1
	v_mov_b32_e32 v26, v0
	v_div_fixup_f32 v46, v2, v44, v43
	s_branch .LBB2_10
.LBB2_9:                                ;   in Loop: Header=BB2_10 Depth=1
	v_add_co_u32 v26, vcc_lo, v26, s28
	v_add_co_ci_u32_e64 v27, null, 0, v27, vcc_lo
	s_add_u32 s37, s37, s40
	s_addc_u32 s38, s38, 0
	s_add_u32 s29, s29, s40
	v_lshlrev_b64 v[1:2], 2, v[26:27]
	s_addc_u32 s34, s34, 0
	s_add_u32 s20, s20, s40
	s_addc_u32 s21, s21, 0
	s_add_u32 s35, s35, s40
	s_addc_u32 s36, s36, 0
	v_cmp_le_i64_e32 vcc_lo, s[8:9], v[1:2]
	s_add_u32 s30, s30, s40
	s_addc_u32 s31, s31, 0
	global_store_dwordx4 v[32:33], v[21:24], off
	global_store_dwordx4 v[28:29], v[13:16], off
	;; [unrolled: 1-line block ×3, first 2 shown]
	s_or_b32 s39, vcc_lo, s39
	s_andn2_b32 exec_lo, exec_lo, s39
	s_cbranch_execz .LBB2_21
.LBB2_10:                               ; =>This Inner Loop Header: Depth=1
	v_add_co_u32 v36, s1, s29, v45
	v_add_co_ci_u32_e64 v37, null, s34, 0, s1
	v_add_co_u32 v34, s1, s35, v45
	v_add_co_ci_u32_e64 v35, null, s36, 0, s1
	;; [unrolled: 2-line block ×5, first 2 shown]
	global_load_dwordx4 v[5:8], v[36:37], off
	global_load_dwordx4 v[1:4], v[34:35], off
	;; [unrolled: 1-line block ×5, first 2 shown]
	s_andn2_b32 vcc_lo, exec_lo, s23
	s_cbranch_vccnz .LBB2_12
; %bb.11:                               ;   in Loop: Header=BB2_10 Depth=1
	global_load_dword v13, v25, s[16:17]
	s_waitcnt vmcnt(0)
	v_div_scale_f32 v14, null, v13, v13, v1
	v_rcp_f32_e32 v15, v14
	v_fma_f32 v16, -v14, v15, 1.0
	v_fmac_f32_e32 v15, v16, v15
	v_div_scale_f32 v16, vcc_lo, v1, v13, v1
	v_mul_f32_e32 v47, v16, v15
	v_fma_f32 v48, -v14, v47, v16
	v_fmac_f32_e32 v47, v48, v15
	v_fma_f32 v14, -v14, v47, v16
	v_div_fmas_f32 v14, v14, v15, v47
	v_div_fixup_f32 v1, v14, v13, v1
.LBB2_12:                               ;   in Loop: Header=BB2_10 Depth=1
	s_andn2_b32 vcc_lo, exec_lo, s23
	s_cbranch_vccnz .LBB2_14
; %bb.13:                               ;   in Loop: Header=BB2_10 Depth=1
	global_load_dword v13, v25, s[16:17]
	s_waitcnt vmcnt(0)
	v_div_scale_f32 v14, null, v13, v13, v2
	v_rcp_f32_e32 v15, v14
	v_fma_f32 v16, -v14, v15, 1.0
	v_fmac_f32_e32 v15, v16, v15
	v_div_scale_f32 v16, vcc_lo, v2, v13, v2
	v_mul_f32_e32 v47, v16, v15
	v_fma_f32 v48, -v14, v47, v16
	v_fmac_f32_e32 v47, v48, v15
	v_fma_f32 v14, -v14, v47, v16
	v_div_fmas_f32 v14, v14, v15, v47
	v_div_fixup_f32 v2, v14, v13, v2
.LBB2_14:                               ;   in Loop: Header=BB2_10 Depth=1
	;; [unrolled: 17-line block ×4, first 2 shown]
	s_waitcnt vmcnt(3)
	v_cndmask_b32_e64 v13, v3, -v3, s33
	v_cndmask_b32_e64 v49, v2, -v2, s33
	s_waitcnt vmcnt(0)
	v_max_f32_e32 v22, v22, v22
	v_fma_f32 v14, v7, v40, v13
	v_cndmask_b32_e64 v13, v13, v14, s0
	v_mul_f32_e32 v14, v13, v13
	v_fma_f32 v15, -v38, v14, v14
	v_max_f32_e32 v14, v23, v23
	v_fmac_f32_e32 v15, v38, v19
	v_max_f32_e32 v19, v14, v15
	v_mul_f32_e32 v14, 0x4f800000, v19
	v_cmp_gt_f32_e32 vcc_lo, 0xf800000, v19
	v_cndmask_b32_e32 v16, v19, v14, vcc_lo
	v_sqrt_f32_e32 v14, v16
	v_add_nc_u32_e32 v23, -1, v14
	v_add_nc_u32_e32 v47, 1, v14
	v_fma_f32 v48, -v23, v14, v16
	v_fma_f32 v50, -v47, v14, v16
	v_cmp_ge_f32_e64 s1, 0, v48
	v_cndmask_b32_e64 v14, v14, v23, s1
	v_fma_f32 v23, v6, v40, v49
	v_cmp_lt_f32_e64 s1, 0, v50
	v_cndmask_b32_e64 v14, v14, v47, s1
	v_cndmask_b32_e64 v47, v49, v23, s0
	v_mul_f32_e32 v23, 0x37800000, v14
	v_mul_f32_e32 v48, v47, v47
	v_cndmask_b32_e32 v23, v14, v23, vcc_lo
	v_fma_f32 v14, -v38, v48, v48
	v_cmp_class_f32_e64 vcc_lo, v16, 0x260
	v_fmac_f32_e32 v14, v38, v18
	v_cndmask_b32_e32 v16, v23, v16, vcc_lo
	v_max_f32_e32 v18, v22, v14
	v_div_scale_f32 v48, null, v42, v42, v16
	v_div_scale_f32 v51, vcc_lo, v16, v42, v16
	v_mul_f32_e32 v23, 0x4f800000, v18
	v_cmp_gt_f32_e64 s1, 0xf800000, v18
	v_rcp_f32_e32 v22, v48
	v_cndmask_b32_e64 v49, v18, v23, s1
	v_sqrt_f32_e32 v50, v49
	v_fma_f32 v23, -v48, v22, 1.0
	v_fmac_f32_e32 v22, v23, v22
	v_cndmask_b32_e64 v23, v1, -v1, s33
	v_add_nc_u32_e32 v53, -1, v50
	v_mul_f32_e32 v52, v51, v22
	v_add_nc_u32_e32 v55, 1, v50
	v_fma_f32 v54, v5, v40, v23
	v_fma_f32 v57, -v53, v50, v49
	v_fma_f32 v56, -v48, v52, v51
	;; [unrolled: 1-line block ×3, first 2 shown]
	v_cndmask_b32_e64 v54, v23, v54, s0
	v_fma_f32 v23, -v39, v13, v13
	v_cmp_ge_f32_e64 s2, 0, v57
	v_fmac_f32_e32 v52, v56, v22
	v_mul_f32_e32 v13, v54, v54
	v_fmac_f32_e32 v23, v39, v11
	v_cndmask_b32_e64 v50, v50, v53, s2
	v_cmp_lt_f32_e64 s2, 0, v58
	v_fma_f32 v48, -v48, v52, v51
	v_fma_f32 v13, -v38, v13, v13
	v_cndmask_b32_e64 v50, v50, v55, s2
	v_div_fmas_f32 v22, v48, v22, v52
	v_cmp_class_f32_e64 vcc_lo, v49, 0x260
	v_fmac_f32_e32 v13, v38, v17
	v_cndmask_b32_e64 v52, v4, -v4, s33
	v_mul_f32_e32 v48, 0x37800000, v50
	v_div_fixup_f32 v11, v22, v42, v16
	v_max_f32_e32 v16, v21, v21
	v_cndmask_b32_e64 v21, v50, v48, s1
	v_mul_f32_e32 v48, v46, v23
	v_add_f32_e32 v11, v11, v41
	v_max_f32_e32 v17, v16, v13
	v_cndmask_b32_e32 v21, v21, v49, vcc_lo
	v_div_scale_f32 v16, null, v11, v11, v48
	v_mul_f32_e32 v22, 0x4f800000, v17
	v_div_scale_f32 v49, null, v42, v42, v21
	v_cmp_gt_f32_e64 s1, 0xf800000, v17
	v_rcp_f32_e32 v50, v16
	v_div_scale_f32 v58, vcc_lo, v48, v11, v48
	v_rcp_f32_e32 v51, v49
	v_cndmask_b32_e64 v53, v17, v22, s1
	v_fma_f32 v22, v8, v40, v52
	v_sqrt_f32_e32 v56, v53
	v_fma_f32 v55, -v16, v50, 1.0
	v_cndmask_b32_e64 v52, v52, v22, s0
	v_fma_f32 v22, -v39, v47, v47
	v_fma_f32 v57, -v49, v51, 1.0
	v_fmac_f32_e32 v50, v55, v50
	v_div_scale_f32 v55, s2, v21, v42, v21
	v_fmac_f32_e32 v51, v57, v51
	v_add_nc_u32_e32 v59, -1, v56
	v_mul_f32_e32 v57, v58, v50
	v_add_nc_u32_e32 v61, 1, v56
	v_fmac_f32_e32 v22, v39, v10
	v_mul_f32_e32 v60, v55, v51
	v_fma_f32 v63, -v59, v56, v53
	v_fma_f32 v62, -v16, v57, v58
	;; [unrolled: 1-line block ×4, first 2 shown]
	v_cmp_ge_f32_e64 s3, 0, v63
	v_fmac_f32_e32 v57, v62, v50
	v_fmac_f32_e32 v60, v47, v51
	v_cndmask_b32_e64 v56, v56, v59, s3
	v_cmp_lt_f32_e64 s3, 0, v64
	v_fma_f32 v16, -v16, v57, v58
	v_mul_f32_e32 v47, v52, v52
	v_fma_f32 v49, -v49, v60, v55
	v_cndmask_b32_e64 v56, v56, v61, s3
	v_div_fmas_f32 v50, v16, v50, v57
	s_mov_b32 vcc_lo, s2
	v_fma_f32 v16, -v38, v47, v47
	v_div_fmas_f32 v49, v49, v51, v60
	v_mul_f32_e32 v51, 0x37800000, v56
	v_cmp_class_f32_e64 vcc_lo, v53, 0x260
	v_mul_f32_e32 v47, v46, v22
	v_fmac_f32_e32 v16, v38, v20
	v_div_fixup_f32 v10, v49, v42, v21
	v_max_f32_e32 v21, v24, v24
	v_cndmask_b32_e64 v24, v56, v51, s1
	v_div_fixup_f32 v11, v50, v11, v48
	v_add_f32_e32 v10, v10, v41
	v_max_f32_e32 v20, v21, v16
	v_cndmask_b32_e32 v24, v24, v53, vcc_lo
	v_sub_f32_e32 v7, v7, v11
	v_div_scale_f32 v49, null, v10, v10, v47
	v_div_scale_f32 v51, null, v42, v42, v24
	v_mul_f32_e32 v21, 0x4f800000, v20
	v_cmp_gt_f32_e64 s1, 0xf800000, v20
	v_rcp_f32_e32 v53, v49
	v_rcp_f32_e32 v55, v51
	v_div_scale_f32 v59, vcc_lo, v47, v10, v47
	v_cndmask_b32_e64 v56, v20, v21, s1
	v_div_scale_f32 v60, s2, v24, v42, v24
	v_sqrt_f32_e32 v57, v56
	v_fma_f32 v21, -v49, v53, 1.0
	v_fma_f32 v58, -v51, v55, 1.0
	v_fmac_f32_e32 v53, v21, v53
	v_fmac_f32_e32 v55, v58, v55
	v_add_nc_u32_e32 v21, -1, v57
	v_mul_f32_e32 v58, v59, v53
	v_mul_f32_e32 v61, v60, v55
	v_add_nc_u32_e32 v62, 1, v57
	v_fma_f32 v64, -v21, v57, v56
	v_fma_f32 v63, -v49, v58, v59
	;; [unrolled: 1-line block ×4, first 2 shown]
	v_cmp_ge_f32_e64 s3, 0, v64
	v_fmac_f32_e32 v58, v63, v53
	v_fmac_f32_e32 v61, v65, v55
	v_cndmask_b32_e64 v57, v57, v21, s3
	v_cmp_lt_f32_e64 s3, 0, v66
	v_fma_f32 v49, -v49, v58, v59
	v_fma_f32 v51, -v51, v61, v60
	;; [unrolled: 1-line block ×3, first 2 shown]
	v_cndmask_b32_e64 v54, v57, v62, s3
	v_div_fmas_f32 v49, v49, v53, v58
	s_mov_b32 vcc_lo, s2
	v_fmac_f32_e32 v21, v39, v9
	v_div_fmas_f32 v51, v51, v55, v61
	v_mul_f32_e32 v53, 0x37800000, v54
	v_cmp_class_f32_e64 vcc_lo, v56, 0x260
	v_div_fixup_f32 v10, v49, v10, v47
	v_div_fixup_f32 v9, v51, v42, v24
	v_cndmask_b32_e64 v24, v54, v53, s1
	v_mul_f32_e32 v51, v46, v21
	v_sub_f32_e32 v6, v6, v10
	v_add_f32_e32 v9, v9, v41
	v_cndmask_b32_e32 v53, v24, v56, vcc_lo
	v_div_scale_f32 v24, null, v9, v9, v51
	v_div_scale_f32 v54, null, v42, v42, v53
	v_div_scale_f32 v59, vcc_lo, v51, v9, v51
	v_rcp_f32_e32 v55, v24
	v_rcp_f32_e32 v56, v54
	v_fma_f32 v57, -v24, v55, 1.0
	v_fma_f32 v58, -v54, v56, 1.0
	v_fmac_f32_e32 v55, v57, v55
	v_div_scale_f32 v57, s1, v53, v42, v53
	v_fmac_f32_e32 v56, v58, v56
	v_mul_f32_e32 v58, v59, v55
	v_mul_f32_e32 v60, v57, v56
	v_fma_f32 v61, -v24, v58, v59
	v_fma_f32 v62, -v54, v60, v57
	v_fmac_f32_e32 v58, v61, v55
	v_fmac_f32_e32 v60, v62, v56
	v_fma_f32 v59, -v24, v58, v59
	v_fma_f32 v24, -v39, v52, v52
	;; [unrolled: 1-line block ×3, first 2 shown]
	v_div_fmas_f32 v54, v59, v55, v58
	s_mov_b32 vcc_lo, s1
	v_fmac_f32_e32 v24, v39, v12
	v_div_fmas_f32 v52, v52, v56, v60
	v_div_fixup_f32 v9, v54, v9, v51
	v_div_fixup_f32 v12, v52, v42, v53
	v_mul_f32_e32 v52, v46, v24
	v_sub_f32_e32 v5, v5, v9
	v_add_f32_e32 v12, v12, v41
	v_div_scale_f32 v53, null, v12, v12, v52
	v_rcp_f32_e32 v55, v53
	v_fma_f32 v56, -v53, v55, 1.0
	v_fmac_f32_e32 v55, v56, v55
	v_div_scale_f32 v56, vcc_lo, v52, v12, v52
	v_mul_f32_e32 v57, v56, v55
	v_fma_f32 v58, -v53, v57, v56
	v_fmac_f32_e32 v57, v58, v55
	v_fma_f32 v53, -v53, v57, v56
	v_div_fmas_f32 v53, v53, v55, v57
	s_andn2_b32 vcc_lo, exec_lo, s23
	v_div_fixup_f32 v12, v53, v12, v52
	v_sub_f32_e32 v8, v8, v12
	global_store_dwordx4 v[36:37], v[5:8], off
	s_cbranch_vccnz .LBB2_9
; %bb.19:                               ;   in Loop: Header=BB2_10 Depth=1
	global_store_dwordx4 v[34:35], v[1:4], off
	s_branch .LBB2_9
.LBB2_20:
                                        ; implicit-def: $sgpr6
	v_mov_b32_e32 v43, s6
	s_branch .LBB2_2
.LBB2_21:
	s_or_b32 exec_lo, exec_lo, s22
	s_mov_b32 s0, 0
.LBB2_22:
	s_andn2_b32 vcc_lo, exec_lo, s0
	s_cbranch_vccnz .LBB2_100
; %bb.23:
	v_cmp_lt_i64_e64 s0, s[26:27], 1
	s_and_b32 vcc_lo, exec_lo, s0
	s_cbranch_vccnz .LBB2_100
; %bb.24:
	v_div_scale_f32 v11, null, v44, v44, v43
	v_div_scale_f32 v13, vcc_lo, v43, v44, v43
	s_load_dword s2, s[4:5], 0xd34
	v_rcp_f32_e32 v12, v11
	v_lshlrev_b32_e32 v1, 2, v0
	v_cmp_gt_i64_e64 s1, 0x10000, s[26:27]
	v_cmp_gt_u64_e64 s3, 0x10000, s[26:27]
	v_mov_b32_e32 v2, 0
	v_cmp_neq_f32_e64 s0, 0, v40
	v_add_co_u32 v3, s4, s14, v1
	v_add_co_ci_u32_e64 v4, null, s15, 0, s4
	v_fma_f32 v5, -v11, v12, 1.0
	s_and_b32 s1, s1, exec_lo
	s_cselect_b32 s9, s27, 0
	s_cselect_b32 s8, s26, 0x10000
	v_fmac_f32_e32 v12, v5, v12
	v_add_co_u32 v5, s4, s12, v1
	v_add_co_ci_u32_e64 v6, null, s13, 0, s4
	v_mul_f32_e32 v14, v13, v12
	v_add_co_u32 v7, s4, s10, v1
	s_waitcnt lgkmcnt(0)
	s_and_b32 s1, s2, 0xffff
	v_add_co_ci_u32_e64 v8, null, s11, 0, s4
	v_fma_f32 v15, -v11, v14, v13
	v_add_co_u32 v9, s4, s24, v1
	s_and_b32 s2, s3, exec_lo
	v_mad_u64_u32 v[22:23], null, s1, 12, v[1:2]
	v_fmac_f32_e32 v14, v15, v12
	s_cselect_b32 s21, s27, 0
	s_cselect_b32 s20, s26, 0x10000
	s_lshl_b32 s2, s1, 1
	v_add_co_ci_u32_e64 v10, null, s25, 0, s4
	v_fma_f32 v11, -v11, v14, v13
	s_cmp_lg_u64 s[16:17], 0
	s_mul_i32 s3, s1, 3
	s_cselect_b32 s22, -1, 0
	v_add_co_u32 v37, s2, s2, v0
	v_div_fmas_f32 v11, v11, v12, v14
	v_add_co_u32 v12, s4, s18, v1
	v_add_co_ci_u32_e64 v13, null, s19, 0, s4
	s_lshl_b32 s4, s1, 3
	v_add_co_u32 v14, vcc_lo, s14, v22
	v_add_co_u32 v34, s4, s4, v1
	v_add_co_u32 v1, s3, s3, v0
	v_add_co_ci_u32_e64 v24, null, 0, 0, s3
	v_add_co_u32 v33, s3, v0, s1
	v_add_co_ci_u32_e64 v15, null, s15, v23, vcc_lo
	v_add_co_u32 v16, vcc_lo, s12, v22
	v_add_co_ci_u32_e64 v17, null, s13, v23, vcc_lo
	v_add_co_u32 v18, vcc_lo, s10, v22
	v_lshlrev_b32_e32 v52, 2, v33
	v_add_co_ci_u32_e64 v19, null, s11, v23, vcc_lo
	v_add_co_u32 v20, vcc_lo, s24, v22
	v_add_co_ci_u32_e64 v35, null, 0, 0, s4
	v_add_co_ci_u32_e64 v21, null, s25, v23, vcc_lo
	v_add_co_u32 v22, vcc_lo, s18, v22
	v_div_fixup_f32 v11, v11, v44, v43
	v_add_co_ci_u32_e64 v23, null, s19, v23, vcc_lo
	v_add_co_u32 v25, vcc_lo, s14, v34
	v_add_co_ci_u32_e64 v43, null, 0, 0, s2
	v_add_co_u32 v44, s2, s14, v52
	v_add_co_ci_u32_e64 v26, null, s15, v35, vcc_lo
	v_add_co_u32 v27, vcc_lo, s12, v34
	v_add_co_ci_u32_e64 v45, null, s15, 0, s2
	v_add_co_u32 v46, s2, s12, v52
	;; [unrolled: 4-line block ×5, first 2 shown]
	v_add_co_ci_u32_e64 v35, null, s19, v35, vcc_lo
	v_add_co_ci_u32_e64 v36, null, 0, 0, s3
	v_add_co_ci_u32_e64 v53, null, s19, 0, s2
	s_mov_b64 s[10:11], 0
	s_lshl_b32 s12, s1, 2
	s_lshl_b32 s13, s1, 4
	s_branch .LBB2_26
.LBB2_25:                               ;   in Loop: Header=BB2_26 Depth=1
	s_or_b32 exec_lo, exec_lo, s1
	v_add_co_u32 v3, vcc_lo, v3, s13
	v_add_co_ci_u32_e64 v4, null, 0, v4, vcc_lo
	v_add_co_u32 v5, vcc_lo, v5, s13
	v_add_co_ci_u32_e64 v6, null, 0, v6, vcc_lo
	;; [unrolled: 2-line block ×16, first 2 shown]
	v_add_co_u32 v46, vcc_lo, v46, s13
	s_add_u32 s10, s10, s12
	v_add_co_ci_u32_e64 v47, null, 0, v47, vcc_lo
	v_add_co_u32 v48, vcc_lo, v48, s13
	s_addc_u32 s11, s11, 0
	v_add_co_ci_u32_e64 v49, null, 0, v49, vcc_lo
	v_add_co_u32 v50, vcc_lo, v50, s13
	v_cmp_ge_i64_e64 s1, s[10:11], s[8:9]
	v_add_co_ci_u32_e64 v51, null, 0, v51, vcc_lo
	v_add_co_u32 v52, vcc_lo, v52, s13
	v_add_co_ci_u32_e64 v53, null, 0, v53, vcc_lo
	s_and_b32 vcc_lo, exec_lo, s1
	s_cbranch_vccnz .LBB2_100
.LBB2_26:                               ; =>This Inner Loop Header: Depth=1
	v_add_co_u32 v54, s1, v0, s10
	v_add_co_ci_u32_e64 v55, null, 0, s11, s1
	v_mov_b32_e32 v62, 0
	v_cmp_gt_u64_e64 s1, s[20:21], v[54:55]
	v_mov_b32_e32 v54, 0
	s_and_saveexec_b32 s2, s1
	s_cbranch_execz .LBB2_28
; %bb.27:                               ;   in Loop: Header=BB2_26 Depth=1
	v_add_co_u32 v54, vcc_lo, v3, s6
	v_add_co_ci_u32_e64 v55, null, s7, v4, vcc_lo
	v_add_co_u32 v56, vcc_lo, v5, s6
	v_add_co_ci_u32_e64 v57, null, s7, v6, vcc_lo
	global_load_dword v62, v[54:55], off
	global_load_dword v54, v[56:57], off
.LBB2_28:                               ;   in Loop: Header=BB2_26 Depth=1
	s_or_b32 exec_lo, exec_lo, s2
	v_mov_b32_e32 v58, 0
	v_mov_b32_e32 v73, 0
	;; [unrolled: 1-line block ×3, first 2 shown]
	s_and_saveexec_b32 s2, s1
	s_cbranch_execz .LBB2_30
; %bb.29:                               ;   in Loop: Header=BB2_26 Depth=1
	v_add_co_u32 v55, vcc_lo, v7, s6
	v_add_co_ci_u32_e64 v56, null, s7, v8, vcc_lo
	v_add_co_u32 v59, vcc_lo, v9, s6
	v_add_co_ci_u32_e64 v60, null, s7, v10, vcc_lo
	global_load_dword v72, v[55:56], off
	global_load_dword v73, v[59:60], off
.LBB2_30:                               ;   in Loop: Header=BB2_26 Depth=1
	s_or_b32 exec_lo, exec_lo, s2
	s_and_saveexec_b32 s2, s1
	s_cbranch_execz .LBB2_32
; %bb.31:                               ;   in Loop: Header=BB2_26 Depth=1
	v_add_co_u32 v55, vcc_lo, v12, s6
	v_add_co_ci_u32_e64 v56, null, s7, v13, vcc_lo
	global_load_dword v58, v[55:56], off
.LBB2_32:                               ;   in Loop: Header=BB2_26 Depth=1
	s_or_b32 exec_lo, exec_lo, s2
	v_add_co_u32 v55, vcc_lo, v33, s10
	v_add_co_ci_u32_e64 v56, null, s11, v36, vcc_lo
	v_mov_b32_e32 v65, 0
	v_mov_b32_e32 v61, 0
	v_cmp_gt_u64_e64 s2, s[20:21], v[55:56]
	v_mov_b32_e32 v55, 0
	s_and_saveexec_b32 s3, s2
	s_cbranch_execz .LBB2_34
; %bb.33:                               ;   in Loop: Header=BB2_26 Depth=1
	v_add_co_u32 v55, vcc_lo, v44, s6
	v_add_co_ci_u32_e64 v56, null, s7, v45, vcc_lo
	v_add_co_u32 v59, vcc_lo, v46, s6
	v_add_co_ci_u32_e64 v60, null, s7, v47, vcc_lo
	global_load_dword v61, v[55:56], off
	global_load_dword v55, v[59:60], off
.LBB2_34:                               ;   in Loop: Header=BB2_26 Depth=1
	s_or_b32 exec_lo, exec_lo, s3
	v_mov_b32_e32 v71, 0
	s_and_saveexec_b32 s3, s2
	s_cbranch_execz .LBB2_36
; %bb.35:                               ;   in Loop: Header=BB2_26 Depth=1
	v_add_co_u32 v56, vcc_lo, v48, s6
	v_add_co_ci_u32_e64 v57, null, s7, v49, vcc_lo
	v_add_co_u32 v59, vcc_lo, v50, s6
	v_add_co_ci_u32_e64 v60, null, s7, v51, vcc_lo
	global_load_dword v71, v[56:57], off
	global_load_dword v65, v[59:60], off
.LBB2_36:                               ;   in Loop: Header=BB2_26 Depth=1
	s_or_b32 exec_lo, exec_lo, s3
	v_mov_b32_e32 v56, 0
	v_mov_b32_e32 v75, 0
	s_and_saveexec_b32 s3, s2
	s_cbranch_execz .LBB2_38
; %bb.37:                               ;   in Loop: Header=BB2_26 Depth=1
	v_add_co_u32 v59, vcc_lo, v52, s6
	v_add_co_ci_u32_e64 v60, null, s7, v53, vcc_lo
	global_load_dword v75, v[59:60], off
.LBB2_38:                               ;   in Loop: Header=BB2_26 Depth=1
	s_or_b32 exec_lo, exec_lo, s3
	v_add_co_u32 v59, vcc_lo, v37, s10
	v_add_co_ci_u32_e64 v60, null, s11, v43, vcc_lo
	v_cmp_gt_u64_e64 s3, s[20:21], v[59:60]
	v_mov_b32_e32 v60, 0
	s_and_saveexec_b32 s4, s3
	s_cbranch_execz .LBB2_40
; %bb.39:                               ;   in Loop: Header=BB2_26 Depth=1
	v_add_co_u32 v56, vcc_lo, v25, s6
	v_add_co_ci_u32_e64 v57, null, s7, v26, vcc_lo
	v_add_co_u32 v63, vcc_lo, v27, s6
	v_add_co_ci_u32_e64 v64, null, s7, v28, vcc_lo
	global_load_dword v60, v[56:57], off
	global_load_dword v56, v[63:64], off
.LBB2_40:                               ;   in Loop: Header=BB2_26 Depth=1
	s_or_b32 exec_lo, exec_lo, s4
	v_mov_b32_e32 v66, 0
	v_mov_b32_e32 v70, 0
	;; [unrolled: 1-line block ×3, first 2 shown]
	s_and_saveexec_b32 s4, s3
	s_cbranch_execz .LBB2_42
; %bb.41:                               ;   in Loop: Header=BB2_26 Depth=1
	v_add_co_u32 v63, vcc_lo, v29, s6
	v_add_co_ci_u32_e64 v64, null, s7, v30, vcc_lo
	v_add_co_u32 v67, vcc_lo, v31, s6
	v_add_co_ci_u32_e64 v68, null, s7, v32, vcc_lo
	global_load_dword v69, v[63:64], off
	global_load_dword v70, v[67:68], off
.LBB2_42:                               ;   in Loop: Header=BB2_26 Depth=1
	s_or_b32 exec_lo, exec_lo, s4
	s_and_saveexec_b32 s4, s3
	s_cbranch_execz .LBB2_44
; %bb.43:                               ;   in Loop: Header=BB2_26 Depth=1
	v_add_co_u32 v63, vcc_lo, v34, s6
	v_add_co_ci_u32_e64 v64, null, s7, v35, vcc_lo
	global_load_dword v66, v[63:64], off
.LBB2_44:                               ;   in Loop: Header=BB2_26 Depth=1
	s_or_b32 exec_lo, exec_lo, s4
	v_add_co_u32 v67, vcc_lo, v1, s10
	v_add_co_ci_u32_e64 v68, null, s11, v24, vcc_lo
	v_mov_b32_e32 v64, 0
	v_mov_b32_e32 v57, 0
	;; [unrolled: 1-line block ×3, first 2 shown]
	v_cmp_gt_u64_e64 s4, s[20:21], v[67:68]
	s_and_saveexec_b32 s5, s4
	s_cbranch_execnz .LBB2_82
; %bb.45:                               ;   in Loop: Header=BB2_26 Depth=1
	s_or_b32 exec_lo, exec_lo, s5
	v_mov_b32_e32 v67, 0
	s_and_saveexec_b32 s5, s4
	s_cbranch_execnz .LBB2_83
.LBB2_46:                               ;   in Loop: Header=BB2_26 Depth=1
	s_or_b32 exec_lo, exec_lo, s5
	v_mov_b32_e32 v74, 0
	s_and_saveexec_b32 s5, s4
	s_cbranch_execnz .LBB2_84
.LBB2_47:                               ;   in Loop: Header=BB2_26 Depth=1
	s_or_b32 exec_lo, exec_lo, s5
	s_andn2_b32 vcc_lo, exec_lo, s22
	s_cbranch_vccnz .LBB2_49
.LBB2_48:                               ;   in Loop: Header=BB2_26 Depth=1
	global_load_dword v63, v2, s[16:17]
	s_waitcnt vmcnt(0)
	v_div_scale_f32 v68, null, v63, v63, v54
	v_rcp_f32_e32 v76, v68
	v_fma_f32 v77, -v68, v76, 1.0
	v_fmac_f32_e32 v76, v77, v76
	v_div_scale_f32 v77, vcc_lo, v54, v63, v54
	v_mul_f32_e32 v78, v77, v76
	v_fma_f32 v79, -v68, v78, v77
	v_fmac_f32_e32 v78, v79, v76
	v_fma_f32 v68, -v68, v78, v77
	v_div_fmas_f32 v68, v68, v76, v78
	v_div_fixup_f32 v54, v68, v63, v54
.LBB2_49:                               ;   in Loop: Header=BB2_26 Depth=1
	s_andn2_b32 vcc_lo, exec_lo, s22
	s_cbranch_vccnz .LBB2_51
; %bb.50:                               ;   in Loop: Header=BB2_26 Depth=1
	global_load_dword v63, v2, s[16:17]
	s_waitcnt vmcnt(0)
	v_div_scale_f32 v68, null, v63, v63, v55
	v_rcp_f32_e32 v76, v68
	v_fma_f32 v77, -v68, v76, 1.0
	v_fmac_f32_e32 v76, v77, v76
	v_div_scale_f32 v77, vcc_lo, v55, v63, v55
	v_mul_f32_e32 v78, v77, v76
	v_fma_f32 v79, -v68, v78, v77
	v_fmac_f32_e32 v78, v79, v76
	v_fma_f32 v68, -v68, v78, v77
	v_div_fmas_f32 v68, v68, v76, v78
	v_div_fixup_f32 v55, v68, v63, v55
.LBB2_51:                               ;   in Loop: Header=BB2_26 Depth=1
	s_andn2_b32 vcc_lo, exec_lo, s22
	s_cbranch_vccnz .LBB2_53
; %bb.52:                               ;   in Loop: Header=BB2_26 Depth=1
	global_load_dword v63, v2, s[16:17]
	s_waitcnt vmcnt(0)
	v_div_scale_f32 v68, null, v63, v63, v56
	v_rcp_f32_e32 v76, v68
	v_fma_f32 v77, -v68, v76, 1.0
	v_fmac_f32_e32 v76, v77, v76
	v_div_scale_f32 v77, vcc_lo, v56, v63, v56
	v_mul_f32_e32 v78, v77, v76
	v_fma_f32 v79, -v68, v78, v77
	v_fmac_f32_e32 v78, v79, v76
	v_fma_f32 v68, -v68, v78, v77
	v_div_fmas_f32 v68, v68, v76, v78
	v_div_fixup_f32 v56, v68, v63, v56
.LBB2_53:                               ;   in Loop: Header=BB2_26 Depth=1
	;; [unrolled: 17-line block ×3, first 2 shown]
	s_waitcnt vmcnt(0)
	v_cndmask_b32_e64 v63, v54, -v54, s33
	v_max_f32_e32 v58, v58, v58
	v_fma_f32 v68, v62, v40, v63
	v_cndmask_b32_e64 v68, v63, v68, s0
	v_mul_f32_e32 v63, v68, v68
	v_fma_f32 v68, -v39, v68, v68
	v_fma_f32 v63, -v38, v63, v63
	v_fmac_f32_e32 v68, v39, v72
	v_fmac_f32_e32 v63, v38, v73
	v_max_f32_e32 v58, v58, v63
	s_and_saveexec_b32 s14, s1
	s_cbranch_execz .LBB2_57
; %bb.56:                               ;   in Loop: Header=BB2_26 Depth=1
	v_mul_f32_e32 v72, 0x4f800000, v58
	v_cmp_gt_f32_e32 vcc_lo, 0xf800000, v58
	v_cndmask_b32_e32 v72, v58, v72, vcc_lo
	v_sqrt_f32_e32 v73, v72
	v_add_nc_u32_e32 v76, -1, v73
	v_add_nc_u32_e32 v77, 1, v73
	v_fma_f32 v78, -v76, v73, v72
	v_fma_f32 v79, -v77, v73, v72
	v_cmp_ge_f32_e64 s5, 0, v78
	v_cndmask_b32_e64 v73, v73, v76, s5
	v_cmp_lt_f32_e64 s5, 0, v79
	v_cndmask_b32_e64 v73, v73, v77, s5
	v_mul_f32_e32 v76, 0x37800000, v73
	v_cndmask_b32_e32 v73, v73, v76, vcc_lo
	v_cmp_class_f32_e64 vcc_lo, v72, 0x260
	v_cndmask_b32_e32 v72, v73, v72, vcc_lo
	v_div_scale_f32 v73, null, v42, v42, v72
	v_div_scale_f32 v78, vcc_lo, v72, v42, v72
	v_rcp_f32_e32 v76, v73
	v_fma_f32 v77, -v73, v76, 1.0
	v_fmac_f32_e32 v76, v77, v76
	v_mul_f32_e32 v77, v78, v76
	v_fma_f32 v79, -v73, v77, v78
	v_fmac_f32_e32 v77, v79, v76
	v_fma_f32 v73, -v73, v77, v78
	v_div_fmas_f32 v73, v73, v76, v77
	v_div_fixup_f32 v72, v73, v42, v72
	v_mul_f32_e32 v73, v11, v68
	v_add_f32_e32 v72, v72, v41
	v_div_scale_f32 v76, null, v72, v72, v73
	v_div_scale_f32 v79, vcc_lo, v73, v72, v73
	v_rcp_f32_e32 v77, v76
	v_fma_f32 v78, -v76, v77, 1.0
	v_fmac_f32_e32 v77, v78, v77
	v_mul_f32_e32 v78, v79, v77
	v_fma_f32 v80, -v76, v78, v79
	v_fmac_f32_e32 v78, v80, v77
	v_fma_f32 v76, -v76, v78, v79
	v_div_fmas_f32 v76, v76, v77, v78
	v_div_fixup_f32 v72, v76, v72, v73
	v_sub_f32_e32 v62, v62, v72
	v_add_co_u32 v72, vcc_lo, v3, s6
	v_add_co_ci_u32_e64 v73, null, s7, v4, vcc_lo
	global_store_dword v[72:73], v62, off
.LBB2_57:                               ;   in Loop: Header=BB2_26 Depth=1
	s_or_b32 exec_lo, exec_lo, s14
	v_cndmask_b32_e64 v62, v55, -v55, s33
	v_fma_f32 v72, v61, v40, v62
	v_cndmask_b32_e64 v62, v62, v72, s0
	v_mul_f32_e32 v72, v62, v62
	v_fma_f32 v73, -v39, v62, v62
	v_max_f32_e32 v62, v75, v75
	v_fma_f32 v72, -v38, v72, v72
	v_fmac_f32_e32 v73, v39, v71
	v_fmac_f32_e32 v72, v38, v65
	v_max_f32_e32 v62, v62, v72
	s_and_saveexec_b32 s14, s2
	s_cbranch_execz .LBB2_59
; %bb.58:                               ;   in Loop: Header=BB2_26 Depth=1
	v_mul_f32_e32 v65, 0x4f800000, v62
	v_cmp_gt_f32_e32 vcc_lo, 0xf800000, v62
	v_cndmask_b32_e32 v65, v62, v65, vcc_lo
	v_sqrt_f32_e32 v71, v65
	v_add_nc_u32_e32 v75, -1, v71
	v_add_nc_u32_e32 v76, 1, v71
	v_fma_f32 v77, -v75, v71, v65
	v_fma_f32 v78, -v76, v71, v65
	v_cmp_ge_f32_e64 s5, 0, v77
	v_cndmask_b32_e64 v71, v71, v75, s5
	v_cmp_lt_f32_e64 s5, 0, v78
	v_cndmask_b32_e64 v71, v71, v76, s5
	v_mul_f32_e32 v75, 0x37800000, v71
	v_cndmask_b32_e32 v71, v71, v75, vcc_lo
	v_cmp_class_f32_e64 vcc_lo, v65, 0x260
	v_cndmask_b32_e32 v65, v71, v65, vcc_lo
	v_div_scale_f32 v71, null, v42, v42, v65
	v_div_scale_f32 v77, vcc_lo, v65, v42, v65
	v_rcp_f32_e32 v75, v71
	v_fma_f32 v76, -v71, v75, 1.0
	v_fmac_f32_e32 v75, v76, v75
	v_mul_f32_e32 v76, v77, v75
	v_fma_f32 v78, -v71, v76, v77
	v_fmac_f32_e32 v76, v78, v75
	v_fma_f32 v71, -v71, v76, v77
	v_div_fmas_f32 v71, v71, v75, v76
	v_div_fixup_f32 v65, v71, v42, v65
	v_mul_f32_e32 v71, v11, v73
	v_add_f32_e32 v65, v65, v41
	v_div_scale_f32 v75, null, v65, v65, v71
	v_div_scale_f32 v78, vcc_lo, v71, v65, v71
	v_rcp_f32_e32 v76, v75
	v_fma_f32 v77, -v75, v76, 1.0
	v_fmac_f32_e32 v76, v77, v76
	v_mul_f32_e32 v77, v78, v76
	v_fma_f32 v79, -v75, v77, v78
	v_fmac_f32_e32 v77, v79, v76
	v_fma_f32 v75, -v75, v77, v78
	v_div_fmas_f32 v75, v75, v76, v77
	v_div_fixup_f32 v65, v75, v65, v71
	v_add_co_u32 v75, vcc_lo, v44, s6
	v_add_co_ci_u32_e64 v76, null, s7, v45, vcc_lo
	v_sub_f32_e32 v61, v61, v65
	global_store_dword v[75:76], v61, off
.LBB2_59:                               ;   in Loop: Header=BB2_26 Depth=1
	s_or_b32 exec_lo, exec_lo, s14
	v_cndmask_b32_e64 v61, v56, -v56, s33
	v_fma_f32 v65, v60, v40, v61
	v_cndmask_b32_e64 v61, v61, v65, s0
	v_mul_f32_e32 v65, v61, v61
	v_fma_f32 v71, -v39, v61, v61
	v_max_f32_e32 v61, v66, v66
	v_fma_f32 v65, -v38, v65, v65
	v_fmac_f32_e32 v71, v39, v69
	v_fmac_f32_e32 v65, v38, v70
	v_max_f32_e32 v61, v61, v65
	s_and_saveexec_b32 s14, s3
	s_cbranch_execz .LBB2_61
; %bb.60:                               ;   in Loop: Header=BB2_26 Depth=1
	v_mul_f32_e32 v66, 0x4f800000, v61
	v_cmp_gt_f32_e32 vcc_lo, 0xf800000, v61
	v_cndmask_b32_e32 v66, v61, v66, vcc_lo
	v_sqrt_f32_e32 v69, v66
	v_add_nc_u32_e32 v70, -1, v69
	v_add_nc_u32_e32 v75, 1, v69
	v_fma_f32 v76, -v70, v69, v66
	v_fma_f32 v77, -v75, v69, v66
	v_cmp_ge_f32_e64 s5, 0, v76
	v_cndmask_b32_e64 v69, v69, v70, s5
	v_cmp_lt_f32_e64 s5, 0, v77
	v_cndmask_b32_e64 v69, v69, v75, s5
	v_mul_f32_e32 v70, 0x37800000, v69
	v_cndmask_b32_e32 v69, v69, v70, vcc_lo
	v_cmp_class_f32_e64 vcc_lo, v66, 0x260
	v_cndmask_b32_e32 v66, v69, v66, vcc_lo
	v_div_scale_f32 v69, null, v42, v42, v66
	v_div_scale_f32 v76, vcc_lo, v66, v42, v66
	v_rcp_f32_e32 v70, v69
	v_fma_f32 v75, -v69, v70, 1.0
	v_fmac_f32_e32 v70, v75, v70
	v_mul_f32_e32 v75, v76, v70
	v_fma_f32 v77, -v69, v75, v76
	v_fmac_f32_e32 v75, v77, v70
	v_fma_f32 v69, -v69, v75, v76
	v_div_fmas_f32 v69, v69, v70, v75
	v_div_fixup_f32 v66, v69, v42, v66
	v_mul_f32_e32 v69, v11, v71
	v_add_f32_e32 v66, v66, v41
	v_div_scale_f32 v70, null, v66, v66, v69
	v_div_scale_f32 v77, vcc_lo, v69, v66, v69
	v_rcp_f32_e32 v75, v70
	v_fma_f32 v76, -v70, v75, 1.0
	v_fmac_f32_e32 v75, v76, v75
	v_mul_f32_e32 v76, v77, v75
	v_fma_f32 v78, -v70, v76, v77
	v_fmac_f32_e32 v76, v78, v75
	v_fma_f32 v70, -v70, v76, v77
	v_div_fmas_f32 v70, v70, v75, v76
	v_div_fixup_f32 v66, v70, v66, v69
	v_add_co_u32 v69, vcc_lo, v25, s6
	v_add_co_ci_u32_e64 v70, null, s7, v26, vcc_lo
	v_sub_f32_e32 v60, v60, v66
	global_store_dword v[69:70], v60, off
.LBB2_61:                               ;   in Loop: Header=BB2_26 Depth=1
	s_or_b32 exec_lo, exec_lo, s14
	v_cndmask_b32_e64 v60, v57, -v57, s33
	v_fma_f32 v66, v59, v40, v60
	v_cndmask_b32_e64 v60, v60, v66, s0
	v_mul_f32_e32 v66, v60, v60
	v_fma_f32 v69, -v39, v60, v60
	v_max_f32_e32 v60, v74, v74
	v_fma_f32 v66, -v38, v66, v66
	v_fmac_f32_e32 v69, v39, v67
	v_fmac_f32_e32 v66, v38, v64
	v_max_f32_e32 v60, v60, v66
	s_and_saveexec_b32 s14, s4
	s_cbranch_execz .LBB2_63
; %bb.62:                               ;   in Loop: Header=BB2_26 Depth=1
	v_mul_f32_e32 v64, 0x4f800000, v60
	v_cmp_gt_f32_e32 vcc_lo, 0xf800000, v60
	v_cndmask_b32_e32 v64, v60, v64, vcc_lo
	v_sqrt_f32_e32 v67, v64
	v_add_nc_u32_e32 v70, -1, v67
	v_add_nc_u32_e32 v74, 1, v67
	v_fma_f32 v75, -v70, v67, v64
	v_fma_f32 v76, -v74, v67, v64
	v_cmp_ge_f32_e64 s5, 0, v75
	v_cndmask_b32_e64 v67, v67, v70, s5
	v_cmp_lt_f32_e64 s5, 0, v76
	v_cndmask_b32_e64 v67, v67, v74, s5
	v_mul_f32_e32 v70, 0x37800000, v67
	v_cndmask_b32_e32 v67, v67, v70, vcc_lo
	v_cmp_class_f32_e64 vcc_lo, v64, 0x260
	v_cndmask_b32_e32 v64, v67, v64, vcc_lo
	v_div_scale_f32 v67, null, v42, v42, v64
	v_div_scale_f32 v75, vcc_lo, v64, v42, v64
	v_rcp_f32_e32 v70, v67
	v_fma_f32 v74, -v67, v70, 1.0
	v_fmac_f32_e32 v70, v74, v70
	v_mul_f32_e32 v74, v75, v70
	v_fma_f32 v76, -v67, v74, v75
	v_fmac_f32_e32 v74, v76, v70
	v_fma_f32 v67, -v67, v74, v75
	v_div_fmas_f32 v67, v67, v70, v74
	v_div_fixup_f32 v64, v67, v42, v64
	v_mul_f32_e32 v67, v11, v69
	v_add_f32_e32 v64, v64, v41
	v_div_scale_f32 v70, null, v64, v64, v67
	v_div_scale_f32 v76, vcc_lo, v67, v64, v67
	v_rcp_f32_e32 v74, v70
	v_fma_f32 v75, -v70, v74, 1.0
	v_fmac_f32_e32 v74, v75, v74
	v_mul_f32_e32 v75, v76, v74
	v_fma_f32 v77, -v70, v75, v76
	v_fmac_f32_e32 v75, v77, v74
	v_fma_f32 v70, -v70, v75, v76
	v_div_fmas_f32 v70, v70, v74, v75
	v_add_co_u32 v74, vcc_lo, v14, s6
	v_add_co_ci_u32_e64 v75, null, s7, v15, vcc_lo
	v_div_fixup_f32 v64, v70, v64, v67
	v_sub_f32_e32 v59, v59, v64
	global_store_dword v[74:75], v59, off
.LBB2_63:                               ;   in Loop: Header=BB2_26 Depth=1
	s_or_b32 exec_lo, exec_lo, s14
	s_andn2_b32 vcc_lo, exec_lo, s22
	s_cbranch_vccnz .LBB2_70
; %bb.64:                               ;   in Loop: Header=BB2_26 Depth=1
	s_and_saveexec_b32 s5, s1
	s_cbranch_execnz .LBB2_97
; %bb.65:                               ;   in Loop: Header=BB2_26 Depth=1
	s_or_b32 exec_lo, exec_lo, s5
	s_and_saveexec_b32 s5, s2
	s_cbranch_execnz .LBB2_98
.LBB2_66:                               ;   in Loop: Header=BB2_26 Depth=1
	s_or_b32 exec_lo, exec_lo, s5
	s_and_saveexec_b32 s5, s3
	s_cbranch_execnz .LBB2_99
.LBB2_67:                               ;   in Loop: Header=BB2_26 Depth=1
	s_or_b32 exec_lo, exec_lo, s5
	s_and_saveexec_b32 s5, s4
	s_cbranch_execz .LBB2_69
.LBB2_68:                               ;   in Loop: Header=BB2_26 Depth=1
	v_add_co_u32 v54, vcc_lo, v16, s6
	v_add_co_ci_u32_e64 v55, null, s7, v17, vcc_lo
	global_store_dword v[54:55], v57, off
.LBB2_69:                               ;   in Loop: Header=BB2_26 Depth=1
	s_or_b32 exec_lo, exec_lo, s5
.LBB2_70:                               ;   in Loop: Header=BB2_26 Depth=1
	s_and_saveexec_b32 s5, s1
	s_cbranch_execnz .LBB2_85
; %bb.71:                               ;   in Loop: Header=BB2_26 Depth=1
	s_or_b32 exec_lo, exec_lo, s5
	s_and_saveexec_b32 s5, s2
	s_cbranch_execnz .LBB2_86
.LBB2_72:                               ;   in Loop: Header=BB2_26 Depth=1
	s_or_b32 exec_lo, exec_lo, s5
	s_and_saveexec_b32 s5, s3
	s_cbranch_execnz .LBB2_87
.LBB2_73:                               ;   in Loop: Header=BB2_26 Depth=1
	s_or_b32 exec_lo, exec_lo, s5
	s_and_saveexec_b32 s5, s4
	s_cbranch_execnz .LBB2_88
.LBB2_74:                               ;   in Loop: Header=BB2_26 Depth=1
	s_or_b32 exec_lo, exec_lo, s5
	s_and_saveexec_b32 s5, s1
	s_cbranch_execnz .LBB2_89
.LBB2_75:                               ;   in Loop: Header=BB2_26 Depth=1
	s_or_b32 exec_lo, exec_lo, s5
	s_and_saveexec_b32 s5, s2
	s_cbranch_execnz .LBB2_90
.LBB2_76:                               ;   in Loop: Header=BB2_26 Depth=1
	s_or_b32 exec_lo, exec_lo, s5
	s_and_saveexec_b32 s5, s3
	s_cbranch_execnz .LBB2_91
.LBB2_77:                               ;   in Loop: Header=BB2_26 Depth=1
	s_or_b32 exec_lo, exec_lo, s5
	s_and_saveexec_b32 s5, s4
	s_cbranch_execnz .LBB2_92
.LBB2_78:                               ;   in Loop: Header=BB2_26 Depth=1
	s_or_b32 exec_lo, exec_lo, s5
	s_and_saveexec_b32 s5, s1
	s_cbranch_execnz .LBB2_93
.LBB2_79:                               ;   in Loop: Header=BB2_26 Depth=1
	s_or_b32 exec_lo, exec_lo, s5
	s_and_saveexec_b32 s1, s2
	s_cbranch_execnz .LBB2_94
.LBB2_80:                               ;   in Loop: Header=BB2_26 Depth=1
	s_or_b32 exec_lo, exec_lo, s1
	s_and_saveexec_b32 s1, s3
	s_cbranch_execnz .LBB2_95
.LBB2_81:                               ;   in Loop: Header=BB2_26 Depth=1
	s_or_b32 exec_lo, exec_lo, s1
	s_and_saveexec_b32 s1, s4
	s_cbranch_execz .LBB2_25
	s_branch .LBB2_96
.LBB2_82:                               ;   in Loop: Header=BB2_26 Depth=1
	v_add_co_u32 v67, vcc_lo, v14, s6
	v_add_co_ci_u32_e64 v68, null, s7, v15, vcc_lo
	v_add_co_u32 v76, vcc_lo, v16, s6
	v_add_co_ci_u32_e64 v77, null, s7, v17, vcc_lo
	global_load_dword v59, v[67:68], off
	global_load_dword v57, v[76:77], off
	s_or_b32 exec_lo, exec_lo, s5
	v_mov_b32_e32 v67, 0
	s_and_saveexec_b32 s5, s4
	s_cbranch_execz .LBB2_46
.LBB2_83:                               ;   in Loop: Header=BB2_26 Depth=1
	v_add_co_u32 v63, vcc_lo, v18, s6
	v_add_co_ci_u32_e64 v64, null, s7, v19, vcc_lo
	v_add_co_u32 v76, vcc_lo, v20, s6
	v_add_co_ci_u32_e64 v77, null, s7, v21, vcc_lo
	global_load_dword v67, v[63:64], off
	global_load_dword v64, v[76:77], off
	s_or_b32 exec_lo, exec_lo, s5
	v_mov_b32_e32 v74, 0
	s_and_saveexec_b32 s5, s4
	s_cbranch_execz .LBB2_47
.LBB2_84:                               ;   in Loop: Header=BB2_26 Depth=1
	v_add_co_u32 v76, vcc_lo, v22, s6
	v_add_co_ci_u32_e64 v77, null, s7, v23, vcc_lo
	global_load_dword v74, v[76:77], off
	s_or_b32 exec_lo, exec_lo, s5
	s_andn2_b32 vcc_lo, exec_lo, s22
	s_cbranch_vccz .LBB2_48
	s_branch .LBB2_49
.LBB2_85:                               ;   in Loop: Header=BB2_26 Depth=1
	v_add_co_u32 v54, vcc_lo, v7, s6
	v_add_co_ci_u32_e64 v55, null, s7, v8, vcc_lo
	global_store_dword v[54:55], v68, off
	s_or_b32 exec_lo, exec_lo, s5
	s_and_saveexec_b32 s5, s2
	s_cbranch_execz .LBB2_72
.LBB2_86:                               ;   in Loop: Header=BB2_26 Depth=1
	v_add_co_u32 v54, vcc_lo, v48, s6
	v_add_co_ci_u32_e64 v55, null, s7, v49, vcc_lo
	global_store_dword v[54:55], v73, off
	s_or_b32 exec_lo, exec_lo, s5
	s_and_saveexec_b32 s5, s3
	s_cbranch_execz .LBB2_73
.LBB2_87:                               ;   in Loop: Header=BB2_26 Depth=1
	v_add_co_u32 v54, vcc_lo, v29, s6
	v_add_co_ci_u32_e64 v55, null, s7, v30, vcc_lo
	global_store_dword v[54:55], v71, off
	s_or_b32 exec_lo, exec_lo, s5
	s_and_saveexec_b32 s5, s4
	s_cbranch_execz .LBB2_74
.LBB2_88:                               ;   in Loop: Header=BB2_26 Depth=1
	v_add_co_u32 v54, vcc_lo, v18, s6
	v_add_co_ci_u32_e64 v55, null, s7, v19, vcc_lo
	global_store_dword v[54:55], v69, off
	s_or_b32 exec_lo, exec_lo, s5
	s_and_saveexec_b32 s5, s1
	s_cbranch_execz .LBB2_75
.LBB2_89:                               ;   in Loop: Header=BB2_26 Depth=1
	v_add_co_u32 v54, vcc_lo, v9, s6
	v_add_co_ci_u32_e64 v55, null, s7, v10, vcc_lo
	global_store_dword v[54:55], v63, off
	s_or_b32 exec_lo, exec_lo, s5
	s_and_saveexec_b32 s5, s2
	s_cbranch_execz .LBB2_76
.LBB2_90:                               ;   in Loop: Header=BB2_26 Depth=1
	v_add_co_u32 v54, vcc_lo, v50, s6
	v_add_co_ci_u32_e64 v55, null, s7, v51, vcc_lo
	global_store_dword v[54:55], v72, off
	s_or_b32 exec_lo, exec_lo, s5
	s_and_saveexec_b32 s5, s3
	s_cbranch_execz .LBB2_77
.LBB2_91:                               ;   in Loop: Header=BB2_26 Depth=1
	v_add_co_u32 v54, vcc_lo, v31, s6
	v_add_co_ci_u32_e64 v55, null, s7, v32, vcc_lo
	global_store_dword v[54:55], v65, off
	s_or_b32 exec_lo, exec_lo, s5
	s_and_saveexec_b32 s5, s4
	s_cbranch_execz .LBB2_78
.LBB2_92:                               ;   in Loop: Header=BB2_26 Depth=1
	v_add_co_u32 v54, vcc_lo, v20, s6
	v_add_co_ci_u32_e64 v55, null, s7, v21, vcc_lo
	global_store_dword v[54:55], v66, off
	s_or_b32 exec_lo, exec_lo, s5
	s_and_saveexec_b32 s5, s1
	s_cbranch_execz .LBB2_79
.LBB2_93:                               ;   in Loop: Header=BB2_26 Depth=1
	v_add_co_u32 v54, vcc_lo, v12, s6
	v_add_co_ci_u32_e64 v55, null, s7, v13, vcc_lo
	global_store_dword v[54:55], v58, off
	s_or_b32 exec_lo, exec_lo, s5
	s_and_saveexec_b32 s1, s2
	s_cbranch_execz .LBB2_80
.LBB2_94:                               ;   in Loop: Header=BB2_26 Depth=1
	v_add_co_u32 v54, vcc_lo, v52, s6
	v_add_co_ci_u32_e64 v55, null, s7, v53, vcc_lo
	global_store_dword v[54:55], v62, off
	s_or_b32 exec_lo, exec_lo, s1
	s_and_saveexec_b32 s1, s3
	s_cbranch_execz .LBB2_81
.LBB2_95:                               ;   in Loop: Header=BB2_26 Depth=1
	v_add_co_u32 v54, vcc_lo, v34, s6
	v_add_co_ci_u32_e64 v55, null, s7, v35, vcc_lo
	global_store_dword v[54:55], v61, off
	s_or_b32 exec_lo, exec_lo, s1
	s_and_saveexec_b32 s1, s4
	s_cbranch_execz .LBB2_25
.LBB2_96:                               ;   in Loop: Header=BB2_26 Depth=1
	v_add_co_u32 v54, vcc_lo, v22, s6
	v_add_co_ci_u32_e64 v55, null, s7, v23, vcc_lo
	global_store_dword v[54:55], v60, off
	s_branch .LBB2_25
.LBB2_97:                               ;   in Loop: Header=BB2_26 Depth=1
	v_add_co_u32 v74, vcc_lo, v5, s6
	v_add_co_ci_u32_e64 v75, null, s7, v6, vcc_lo
	global_store_dword v[74:75], v54, off
	s_or_b32 exec_lo, exec_lo, s5
	s_and_saveexec_b32 s5, s2
	s_cbranch_execz .LBB2_66
.LBB2_98:                               ;   in Loop: Header=BB2_26 Depth=1
	v_add_co_u32 v74, vcc_lo, v46, s6
	v_add_co_ci_u32_e64 v75, null, s7, v47, vcc_lo
	global_store_dword v[74:75], v55, off
	s_or_b32 exec_lo, exec_lo, s5
	s_and_saveexec_b32 s5, s3
	s_cbranch_execz .LBB2_67
.LBB2_99:                               ;   in Loop: Header=BB2_26 Depth=1
	v_add_co_u32 v54, vcc_lo, v27, s6
	v_add_co_ci_u32_e64 v55, null, s7, v28, vcc_lo
	global_store_dword v[54:55], v56, off
	s_or_b32 exec_lo, exec_lo, s5
	s_and_saveexec_b32 s5, s4
	s_cbranch_execnz .LBB2_68
	s_branch .LBB2_69
.LBB2_100:
	s_endpgm
	.section	.rodata,"a",@progbits
	.p2align	6, 0x0
	.amdhsa_kernel _ZN2at6native12_GLOBAL__N_125multi_tensor_apply_kernelINS1_32FusedOptimizerTensorListMetadataILi5EEENS1_20FusedAdamMathFunctorIfLi5ELNS0_9ADAM_MODEE0ELb1EEEJPKfdddddbS9_S9_EEEvT_T0_DpT1_
		.amdhsa_group_segment_fixed_size 0
		.amdhsa_private_segment_fixed_size 0
		.amdhsa_kernarg_size 3624
		.amdhsa_user_sgpr_count 6
		.amdhsa_user_sgpr_private_segment_buffer 1
		.amdhsa_user_sgpr_dispatch_ptr 0
		.amdhsa_user_sgpr_queue_ptr 0
		.amdhsa_user_sgpr_kernarg_segment_ptr 1
		.amdhsa_user_sgpr_dispatch_id 0
		.amdhsa_user_sgpr_flat_scratch_init 0
		.amdhsa_user_sgpr_private_segment_size 0
		.amdhsa_wavefront_size32 1
		.amdhsa_uses_dynamic_stack 0
		.amdhsa_system_sgpr_private_segment_wavefront_offset 0
		.amdhsa_system_sgpr_workgroup_id_x 1
		.amdhsa_system_sgpr_workgroup_id_y 0
		.amdhsa_system_sgpr_workgroup_id_z 0
		.amdhsa_system_sgpr_workgroup_info 0
		.amdhsa_system_vgpr_workitem_id 0
		.amdhsa_next_free_vgpr 81
		.amdhsa_next_free_sgpr 41
		.amdhsa_reserve_vcc 1
		.amdhsa_reserve_flat_scratch 0
		.amdhsa_float_round_mode_32 0
		.amdhsa_float_round_mode_16_64 0
		.amdhsa_float_denorm_mode_32 3
		.amdhsa_float_denorm_mode_16_64 3
		.amdhsa_dx10_clamp 1
		.amdhsa_ieee_mode 1
		.amdhsa_fp16_overflow 0
		.amdhsa_workgroup_processor_mode 1
		.amdhsa_memory_ordered 1
		.amdhsa_forward_progress 1
		.amdhsa_shared_vgpr_count 0
		.amdhsa_exception_fp_ieee_invalid_op 0
		.amdhsa_exception_fp_denorm_src 0
		.amdhsa_exception_fp_ieee_div_zero 0
		.amdhsa_exception_fp_ieee_overflow 0
		.amdhsa_exception_fp_ieee_underflow 0
		.amdhsa_exception_fp_ieee_inexact 0
		.amdhsa_exception_int_div_zero 0
	.end_amdhsa_kernel
	.section	.text._ZN2at6native12_GLOBAL__N_125multi_tensor_apply_kernelINS1_32FusedOptimizerTensorListMetadataILi5EEENS1_20FusedAdamMathFunctorIfLi5ELNS0_9ADAM_MODEE0ELb1EEEJPKfdddddbS9_S9_EEEvT_T0_DpT1_,"axG",@progbits,_ZN2at6native12_GLOBAL__N_125multi_tensor_apply_kernelINS1_32FusedOptimizerTensorListMetadataILi5EEENS1_20FusedAdamMathFunctorIfLi5ELNS0_9ADAM_MODEE0ELb1EEEJPKfdddddbS9_S9_EEEvT_T0_DpT1_,comdat
.Lfunc_end2:
	.size	_ZN2at6native12_GLOBAL__N_125multi_tensor_apply_kernelINS1_32FusedOptimizerTensorListMetadataILi5EEENS1_20FusedAdamMathFunctorIfLi5ELNS0_9ADAM_MODEE0ELb1EEEJPKfdddddbS9_S9_EEEvT_T0_DpT1_, .Lfunc_end2-_ZN2at6native12_GLOBAL__N_125multi_tensor_apply_kernelINS1_32FusedOptimizerTensorListMetadataILi5EEENS1_20FusedAdamMathFunctorIfLi5ELNS0_9ADAM_MODEE0ELb1EEEJPKfdddddbS9_S9_EEEvT_T0_DpT1_
                                        ; -- End function
	.set _ZN2at6native12_GLOBAL__N_125multi_tensor_apply_kernelINS1_32FusedOptimizerTensorListMetadataILi5EEENS1_20FusedAdamMathFunctorIfLi5ELNS0_9ADAM_MODEE0ELb1EEEJPKfdddddbS9_S9_EEEvT_T0_DpT1_.num_vgpr, 81
	.set _ZN2at6native12_GLOBAL__N_125multi_tensor_apply_kernelINS1_32FusedOptimizerTensorListMetadataILi5EEENS1_20FusedAdamMathFunctorIfLi5ELNS0_9ADAM_MODEE0ELb1EEEJPKfdddddbS9_S9_EEEvT_T0_DpT1_.num_agpr, 0
	.set _ZN2at6native12_GLOBAL__N_125multi_tensor_apply_kernelINS1_32FusedOptimizerTensorListMetadataILi5EEENS1_20FusedAdamMathFunctorIfLi5ELNS0_9ADAM_MODEE0ELb1EEEJPKfdddddbS9_S9_EEEvT_T0_DpT1_.numbered_sgpr, 41
	.set _ZN2at6native12_GLOBAL__N_125multi_tensor_apply_kernelINS1_32FusedOptimizerTensorListMetadataILi5EEENS1_20FusedAdamMathFunctorIfLi5ELNS0_9ADAM_MODEE0ELb1EEEJPKfdddddbS9_S9_EEEvT_T0_DpT1_.num_named_barrier, 0
	.set _ZN2at6native12_GLOBAL__N_125multi_tensor_apply_kernelINS1_32FusedOptimizerTensorListMetadataILi5EEENS1_20FusedAdamMathFunctorIfLi5ELNS0_9ADAM_MODEE0ELb1EEEJPKfdddddbS9_S9_EEEvT_T0_DpT1_.private_seg_size, 0
	.set _ZN2at6native12_GLOBAL__N_125multi_tensor_apply_kernelINS1_32FusedOptimizerTensorListMetadataILi5EEENS1_20FusedAdamMathFunctorIfLi5ELNS0_9ADAM_MODEE0ELb1EEEJPKfdddddbS9_S9_EEEvT_T0_DpT1_.uses_vcc, 1
	.set _ZN2at6native12_GLOBAL__N_125multi_tensor_apply_kernelINS1_32FusedOptimizerTensorListMetadataILi5EEENS1_20FusedAdamMathFunctorIfLi5ELNS0_9ADAM_MODEE0ELb1EEEJPKfdddddbS9_S9_EEEvT_T0_DpT1_.uses_flat_scratch, 0
	.set _ZN2at6native12_GLOBAL__N_125multi_tensor_apply_kernelINS1_32FusedOptimizerTensorListMetadataILi5EEENS1_20FusedAdamMathFunctorIfLi5ELNS0_9ADAM_MODEE0ELb1EEEJPKfdddddbS9_S9_EEEvT_T0_DpT1_.has_dyn_sized_stack, 0
	.set _ZN2at6native12_GLOBAL__N_125multi_tensor_apply_kernelINS1_32FusedOptimizerTensorListMetadataILi5EEENS1_20FusedAdamMathFunctorIfLi5ELNS0_9ADAM_MODEE0ELb1EEEJPKfdddddbS9_S9_EEEvT_T0_DpT1_.has_recursion, 0
	.set _ZN2at6native12_GLOBAL__N_125multi_tensor_apply_kernelINS1_32FusedOptimizerTensorListMetadataILi5EEENS1_20FusedAdamMathFunctorIfLi5ELNS0_9ADAM_MODEE0ELb1EEEJPKfdddddbS9_S9_EEEvT_T0_DpT1_.has_indirect_call, 0
	.section	.AMDGPU.csdata,"",@progbits
; Kernel info:
; codeLenInByte = 9080
; TotalNumSgprs: 43
; NumVgprs: 81
; ScratchSize: 0
; MemoryBound: 0
; FloatMode: 240
; IeeeMode: 1
; LDSByteSize: 0 bytes/workgroup (compile time only)
; SGPRBlocks: 0
; VGPRBlocks: 10
; NumSGPRsForWavesPerEU: 43
; NumVGPRsForWavesPerEU: 81
; Occupancy: 10
; WaveLimiterHint : 0
; COMPUTE_PGM_RSRC2:SCRATCH_EN: 0
; COMPUTE_PGM_RSRC2:USER_SGPR: 6
; COMPUTE_PGM_RSRC2:TRAP_HANDLER: 0
; COMPUTE_PGM_RSRC2:TGID_X_EN: 1
; COMPUTE_PGM_RSRC2:TGID_Y_EN: 0
; COMPUTE_PGM_RSRC2:TGID_Z_EN: 0
; COMPUTE_PGM_RSRC2:TIDIG_COMP_CNT: 0
	.section	.text._ZN2at6native12_GLOBAL__N_125multi_tensor_apply_kernelINS1_32FusedOptimizerTensorListMetadataILi5EEENS1_20FusedAdamMathFunctorIN3c104HalfELi5ELNS0_9ADAM_MODEE0ELb1EEEJPKfdddddbSB_SB_EEEvT_T0_DpT1_,"axG",@progbits,_ZN2at6native12_GLOBAL__N_125multi_tensor_apply_kernelINS1_32FusedOptimizerTensorListMetadataILi5EEENS1_20FusedAdamMathFunctorIN3c104HalfELi5ELNS0_9ADAM_MODEE0ELb1EEEJPKfdddddbSB_SB_EEEvT_T0_DpT1_,comdat
	.globl	_ZN2at6native12_GLOBAL__N_125multi_tensor_apply_kernelINS1_32FusedOptimizerTensorListMetadataILi5EEENS1_20FusedAdamMathFunctorIN3c104HalfELi5ELNS0_9ADAM_MODEE0ELb1EEEJPKfdddddbSB_SB_EEEvT_T0_DpT1_ ; -- Begin function _ZN2at6native12_GLOBAL__N_125multi_tensor_apply_kernelINS1_32FusedOptimizerTensorListMetadataILi5EEENS1_20FusedAdamMathFunctorIN3c104HalfELi5ELNS0_9ADAM_MODEE0ELb1EEEJPKfdddddbSB_SB_EEEvT_T0_DpT1_
	.p2align	8
	.type	_ZN2at6native12_GLOBAL__N_125multi_tensor_apply_kernelINS1_32FusedOptimizerTensorListMetadataILi5EEENS1_20FusedAdamMathFunctorIN3c104HalfELi5ELNS0_9ADAM_MODEE0ELb1EEEJPKfdddddbSB_SB_EEEvT_T0_DpT1_,@function
_ZN2at6native12_GLOBAL__N_125multi_tensor_apply_kernelINS1_32FusedOptimizerTensorListMetadataILi5EEENS1_20FusedAdamMathFunctorIN3c104HalfELi5ELNS0_9ADAM_MODEE0ELb1EEEJPKfdddddbSB_SB_EEEvT_T0_DpT1_: ; @_ZN2at6native12_GLOBAL__N_125multi_tensor_apply_kernelINS1_32FusedOptimizerTensorListMetadataILi5EEENS1_20FusedAdamMathFunctorIN3c104HalfELi5ELNS0_9ADAM_MODEE0ELb1EEEJPKfdddddbSB_SB_EEEvT_T0_DpT1_
; %bb.0:
	v_mov_b32_e32 v1, s6
	s_add_u32 s1, s4, s6
	s_mul_hi_u32 s3, s6, 3
	s_mul_i32 s6, s6, 3
	s_addc_u32 s7, s5, 0
	global_load_ubyte v1, v1, s[4:5] offset:1680
	s_clause 0x1
	s_load_dwordx8 s[8:15], s[4:5], 0xce0
	s_load_dwordx4 s[20:23], s[4:5], 0xd00
	s_add_u32 s2, s1, s6
	s_addc_u32 s3, s7, s3
	s_mov_b32 s1, 0
	s_waitcnt lgkmcnt(0)
	s_cmp_eq_u64 s[8:9], 0
	s_waitcnt vmcnt(0)
	v_readfirstlane_b32 s0, v1
	s_cbranch_scc1 .LBB3_20
; %bb.1:
	s_load_dword s6, s[8:9], 0x0
	s_waitcnt lgkmcnt(0)
	v_mov_b32_e32 v30, s6
	s_andn2_b32 vcc_lo, exec_lo, s1
	s_cbranch_vccnz .LBB3_3
.LBB3_2:
	v_cvt_f32_f64_e32 v30, s[10:11]
.LBB3_3:
	s_load_dwordx4 s[16:19], s[4:5], 0xd18
	s_waitcnt lgkmcnt(0)
	s_cmp_eq_u64 s[18:19], 0
	s_cselect_b32 s1, -1, 0
	s_and_b32 vcc_lo, exec_lo, s1
	s_cbranch_vccnz .LBB3_5
; %bb.4:
	s_load_dword s1, s[18:19], 0x0
	s_waitcnt lgkmcnt(0)
	v_cmp_neq_f32_e64 s1, s1, 1.0
.LBB3_5:
	s_andn2_b32 vcc_lo, exec_lo, s1
	s_cbranch_vccnz .LBB3_100
; %bb.6:
	s_load_dword s1, s[4:5], 0xd10
	v_cvt_f32_f64_e32 v25, s[14:15]
	v_cvt_f32_f64_e32 v26, s[12:13]
	s_mov_b32 s9, 0
	s_mov_b32 s31, s9
	s_waitcnt lgkmcnt(0)
	s_bitcmp1_b32 s1, 0
	s_cselect_b32 s33, -1, 0
	s_and_b32 s0, s0, 0xff
	v_cmp_neq_f32_e32 vcc_lo, 1.0, v25
	s_lshl_b32 s30, s0, 3
	s_clause 0x1
	s_load_dwordx2 s[0:1], s[4:5], s30 offset:0x5a0
	s_load_dwordx2 s[26:27], s[4:5], s30 offset:0x4b0
	s_waitcnt lgkmcnt(0)
	s_load_dword s0, s[0:1], 0x0
	s_mov_b32 s1, 0x3e76c4e1
	s_clause 0x4
	s_load_dword s28, s[2:3], 0x7d0
	s_load_dwordx2 s[14:15], s[4:5], s30 offset:0x0
	s_load_dwordx2 s[12:13], s[4:5], s30 offset:0xf0
	;; [unrolled: 1-line block ×4, first 2 shown]
	s_waitcnt lgkmcnt(0)
	v_cndmask_b32_e64 v5, 1.0, s0, vcc_lo
	v_cmp_neq_f32_e32 vcc_lo, 1.0, v26
	s_ashr_i32 s29, s28, 31
	s_lshl_b64 s[18:19], s[28:29], 16
	v_cmp_neq_f32_e64 s34, v5, |v5|
	v_cndmask_b32_e64 v6, 1.0, s0, vcc_lo
	v_cmp_neq_f32_e32 vcc_lo, 0, v5
	v_cmp_neq_f32_e64 s8, v6, |v6|
	v_cndmask_b32_e32 v7, 1.0, v25, vcc_lo
	v_cmp_neq_f32_e32 vcc_lo, 0, v6
	v_frexp_mant_f32_e64 v1, |v7|
	v_cndmask_b32_e32 v8, 1.0, v26, vcc_lo
	v_cmp_lt_f32_e64 s37, |v7|, 1.0
	v_cmp_class_f32_e64 s38, v7, 0x204
	v_cmp_gt_f32_e32 vcc_lo, 0x3f2aaaab, v1
	v_frexp_mant_f32_e64 v2, |v8|
	v_cmp_lt_f32_e64 s35, |v8|, 1.0
	v_cmp_class_f32_e64 s36, v8, 0x204
	v_cndmask_b32_e64 v3, 1.0, 2.0, vcc_lo
	v_cmp_gt_f32_e64 s0, 0x3f2aaaab, v2
	s_xor_b32 s8, s8, s35
	v_mul_f32_e32 v1, v1, v3
	v_cndmask_b32_e64 v4, 1.0, 2.0, s0
	v_add_f32_e32 v3, 1.0, v1
	v_mul_f32_e32 v2, v2, v4
	v_add_f32_e32 v11, -1.0, v1
	v_rcp_f32_e32 v9, v3
	v_add_f32_e32 v4, 1.0, v2
	v_add_f32_e32 v12, -1.0, v2
	v_add_f32_e32 v15, -1.0, v3
	v_rcp_f32_e32 v10, v4
	v_add_f32_e32 v17, -1.0, v4
	v_sub_f32_e32 v1, v1, v15
	v_mul_f32_e32 v13, v11, v9
	v_sub_f32_e32 v2, v2, v17
	v_mul_f32_e32 v16, v3, v13
	v_mul_f32_e32 v14, v12, v10
	v_fma_f32 v3, v13, v3, -v16
	v_mul_f32_e32 v18, v4, v14
	v_fmac_f32_e32 v3, v13, v1
	v_fma_f32 v4, v14, v4, -v18
	v_add_f32_e32 v1, v16, v3
	v_fmac_f32_e32 v4, v14, v2
	v_sub_f32_e32 v15, v11, v1
	v_add_f32_e32 v2, v18, v4
	v_sub_f32_e32 v16, v1, v16
	v_sub_f32_e32 v11, v11, v15
	;; [unrolled: 1-line block ×8, first 2 shown]
	v_add_f32_e32 v1, v3, v1
	v_sub_f32_e32 v2, v12, v2
	v_add_f32_e32 v1, v15, v1
	v_add_f32_e32 v2, v4, v2
	v_mul_f32_e32 v1, v9, v1
	v_add_f32_e32 v2, v17, v2
	v_add_f32_e32 v9, v13, v1
	v_mul_f32_e32 v2, v10, v2
	v_sub_f32_e32 v3, v9, v13
	v_add_f32_e32 v10, v14, v2
	v_mul_f32_e32 v11, v9, v9
	v_sub_f32_e32 v12, v1, v3
	v_sub_f32_e32 v4, v10, v14
	v_mul_f32_e32 v3, v10, v10
	v_add_f32_e32 v1, v12, v12
	v_sub_f32_e32 v13, v2, v4
	v_fma_f32 v4, v9, v9, -v11
	v_fma_f32 v14, v10, v10, -v3
	v_add_f32_e32 v2, v13, v13
	v_fmac_f32_e32 v4, v9, v1
	v_fmac_f32_e32 v14, v10, v2
	v_add_f32_e32 v15, v11, v4
	v_cvt_f64_f32_e64 v[1:2], |v8|
	v_add_f32_e32 v16, v3, v14
	v_fmaak_f32 v17, s1, v15, 0x3e91f4c4
	v_sub_f32_e32 v11, v15, v11
	v_mul_f32_e32 v23, v9, v15
	v_fmaak_f32 v18, s1, v16, 0x3e91f4c4
	v_fmaak_f32 v17, v15, v17, 0x3ecccdef
	v_sub_f32_e32 v11, v4, v11
	v_sub_f32_e32 v3, v16, v3
	v_fma_f32 v29, v15, v9, -v23
	v_fmaak_f32 v18, v16, v18, 0x3ecccdef
	v_mul_f32_e32 v19, v15, v17
	v_sub_f32_e32 v14, v14, v3
	v_cvt_f64_f32_e64 v[3:4], |v7|
	v_mul_f32_e32 v20, v16, v18
	v_fma_f32 v21, v15, v17, -v19
	v_fmac_f32_e32 v29, v15, v12
	v_ldexp_f32 v12, v12, 1
	v_frexp_exp_i32_f64_e32 v1, v[1:2]
	v_fma_f32 v22, v16, v18, -v20
	v_fmac_f32_e32 v21, v11, v17
	v_mul_f32_e32 v2, v10, v16
	v_fmac_f32_e32 v29, v11, v9
	v_fmac_f32_e32 v22, v14, v18
	v_add_f32_e32 v17, v19, v21
	v_fma_f32 v27, v16, v10, -v2
	v_add_f32_e32 v18, v20, v22
	v_sub_f32_e32 v19, v17, v19
	v_add_f32_e32 v24, 0x3f2aaaaa, v17
	v_fmac_f32_e32 v27, v16, v13
	v_ldexp_f32 v13, v13, 1
	v_sub_f32_e32 v20, v18, v20
	v_sub_f32_e32 v19, v21, v19
	v_add_f32_e32 v21, 0xbf2aaaaa, v24
	v_add_f32_e32 v28, 0x3f2aaaaa, v18
	v_fmac_f32_e32 v27, v14, v10
	v_sub_f32_e32 v20, v22, v20
	v_add_f32_e32 v19, 0x31739010, v19
	v_sub_f32_e32 v17, v17, v21
	v_add_f32_e32 v22, 0xbf2aaaaa, v28
	v_add_f32_e32 v14, v23, v29
	;; [unrolled: 1-line block ×3, first 2 shown]
	v_frexp_exp_i32_f64_e32 v3, v[3:4]
	v_add_f32_e32 v17, v19, v17
	v_sub_f32_e32 v16, v18, v22
	v_add_f32_e32 v19, v2, v27
	v_sub_f32_e32 v20, v14, v23
	v_subrev_co_ci_u32_e64 v1, null, 0, v1, s0
	v_add_f32_e32 v11, v24, v17
	v_add_f32_e32 v4, v15, v16
	v_sub_f32_e32 v20, v29, v20
	v_sub_f32_e32 v2, v19, v2
	v_ldexp_f32 v10, v10, 1
	v_sub_f32_e32 v16, v24, v11
	v_mul_f32_e32 v18, v14, v11
	v_add_f32_e32 v15, v28, v4
	v_sub_f32_e32 v2, v27, v2
	v_cvt_f32_i32_e32 v1, v1
	v_add_f32_e32 v16, v17, v16
	v_fma_f32 v17, v14, v11, -v18
	v_sub_f32_e32 v21, v28, v15
	v_mul_f32_e32 v22, v19, v15
	v_cvt_f32_f64_e32 v28, s[22:23]
	v_subrev_co_ci_u32_e64 v3, null, 0, v3, vcc_lo
	v_fmac_f32_e32 v17, v14, v16
	v_add_f32_e32 v4, v4, v21
	v_fma_f32 v14, v19, v15, -v22
	v_cvt_f32_i32_e32 v3, v3
	v_cmp_gt_f32_e32 vcc_lo, 0, v6
	v_fmac_f32_e32 v17, v20, v11
	v_mul_f32_e32 v11, 0x3f317218, v1
	v_fmac_f32_e32 v14, v19, v4
	v_ldexp_f32 v4, v9, 1
	s_mov_b32 s23, s9
	v_add_f32_e32 v9, v18, v17
	v_fmac_f32_e32 v14, v2, v15
	v_mul_f32_e32 v2, 0x3f317218, v3
	v_add_f32_e32 v15, v4, v9
	v_sub_f32_e32 v16, v9, v18
	v_add_f32_e32 v18, v22, v14
	v_fma_f32 v19, 0x3f317218, v3, -v2
	v_sub_f32_e32 v4, v15, v4
	v_sub_f32_e32 v16, v17, v16
	v_add_f32_e32 v17, v10, v18
	v_sub_f32_e32 v20, v18, v22
	v_fmac_f32_e32 v19, 0xb102e308, v3
	v_sub_f32_e32 v4, v9, v4
	v_add_f32_e32 v9, v12, v16
	v_sub_f32_e32 v10, v17, v10
	v_sub_f32_e32 v12, v14, v20
	v_fma_f32 v14, 0x3f317218, v1, -v11
	v_add_f32_e32 v3, v9, v4
	v_sub_f32_e32 v4, v18, v10
	v_add_f32_e32 v9, v13, v12
	v_add_f32_e32 v10, v2, v19
	v_fmac_f32_e32 v14, 0xb102e308, v1
	v_add_f32_e32 v12, v15, v3
	v_add_f32_e32 v1, v9, v4
	v_sub_f32_e32 v2, v10, v2
	v_add_f32_e32 v9, v11, v14
	v_add_f32_e32 v4, v10, v12
	v_sub_f32_e32 v15, v12, v15
	v_add_f32_e32 v13, v17, v1
	v_sub_f32_e32 v2, v19, v2
	v_sub_f32_e32 v11, v9, v11
	;; [unrolled: 1-line block ×4, first 2 shown]
	v_add_f32_e32 v18, v9, v13
	v_sub_f32_e32 v15, v13, v17
	v_sub_f32_e32 v11, v14, v11
	;; [unrolled: 1-line block ×5, first 2 shown]
	v_add_f32_e32 v16, v2, v3
	v_sub_f32_e32 v1, v1, v15
	v_sub_f32_e32 v10, v10, v20
	;; [unrolled: 1-line block ×3, first 2 shown]
	v_add_f32_e32 v10, v12, v10
	v_sub_f32_e32 v12, v13, v19
	v_sub_f32_e32 v9, v9, v14
	;; [unrolled: 1-line block ×3, first 2 shown]
	v_add_f32_e32 v14, v11, v1
	v_add_f32_e32 v10, v16, v10
	;; [unrolled: 1-line block ×3, first 2 shown]
	v_sub_f32_e32 v12, v16, v13
	v_sub_f32_e32 v16, v14, v11
	v_add_f32_e32 v15, v4, v10
	v_sub_f32_e32 v3, v3, v13
	v_add_f32_e32 v9, v14, v9
	v_sub_f32_e32 v2, v2, v12
	v_sub_f32_e32 v12, v14, v16
	;; [unrolled: 1-line block ×4, first 2 shown]
	v_add_f32_e32 v13, v18, v9
	v_add_f32_e32 v2, v3, v2
	v_mul_f32_e32 v14, 0.5, v5
	v_sub_f32_e32 v3, v10, v4
	v_sub_f32_e32 v4, v11, v12
	;; [unrolled: 1-line block ×3, first 2 shown]
	v_trunc_f32_e32 v11, v6
	v_trunc_f32_e32 v20, v14
	v_add_f32_e32 v2, v2, v3
	v_add_f32_e32 v1, v1, v4
	v_sub_f32_e32 v3, v9, v10
	v_cmp_eq_f32_e64 s1, v11, v6
	v_add_f32_e32 v4, v15, v2
	v_add_f32_e32 v1, v1, v3
	v_sub_f32_e32 v3, v4, v15
	v_mul_f32_e32 v9, v5, v4
	v_add_f32_e32 v10, v13, v1
	v_sub_f32_e32 v2, v2, v3
	v_fma_f32 v3, v5, v4, -v9
	v_sub_f32_e32 v12, v10, v13
	v_mul_f32_e32 v13, v6, v10
	v_cmp_class_f32_e64 s0, v9, 0x204
	v_mul_f32_e32 v4, 0.5, v6
	v_fmac_f32_e32 v3, v5, v2
	v_sub_f32_e32 v1, v1, v12
	v_fma_f32 v2, v6, v10, -v13
	v_trunc_f32_e32 v10, v5
	v_trunc_f32_e32 v11, v4
	v_add_f32_e32 v12, v9, v3
	v_fmac_f32_e32 v2, v6, v1
	v_cmp_eq_f32_e64 s3, v10, v5
	v_cmp_neq_f32_e64 s7, v11, v4
	v_cndmask_b32_e64 v1, v12, v9, s0
	v_sub_f32_e32 v9, v12, v9
	v_add_f32_e32 v15, v13, v2
	v_cmp_gt_f32_e64 s0, 0, v5
	v_cmp_eq_f32_e64 s2, 0x42b17218, v1
	v_sub_f32_e32 v3, v3, v9
	v_cndmask_b32_e64 v16, 0, 0x37000000, s2
	v_cmp_class_f32_e64 s2, v13, 0x204
	v_sub_f32_e32 v18, v1, v16
	v_cndmask_b32_e64 v17, v15, v13, s2
	v_cmp_eq_f32_e64 s2, 0, v8
	v_sub_f32_e32 v13, v15, v13
	v_mul_f32_e32 v19, 0x3fb8aa3b, v18
	v_cmp_eq_f32_e64 s6, 0x42b17218, v17
	v_sub_f32_e32 v2, v2, v13
	v_fma_f32 v22, 0x3fb8aa3b, v18, -v19
	v_cndmask_b32_e64 v10, 0, 0x37000000, s6
	v_rndne_f32_e32 v23, v19
	v_cmp_eq_f32_e64 s6, 0, v7
	v_fmac_f32_e32 v22, 0x32a5705f, v18
	v_sub_f32_e32 v21, v17, v10
	v_sub_f32_e32 v11, v19, v23
	v_cndmask_b32_e64 v19, 0x7f800000, 0, s8
	s_xor_b32 s8, vcc_lo, s2
	v_cmp_neq_f32_e32 vcc_lo, v20, v14
	v_mul_f32_e32 v4, 0x3fb8aa3b, v21
	v_add_f32_e32 v11, v11, v22
	v_cndmask_b32_e64 v22, 0x7f800000, 0, s8
	s_xor_b32 s8, s34, s37
	v_cvt_i32_f32_e32 v12, v23
	v_fma_f32 v24, 0x3fb8aa3b, v21, -v4
	v_rndne_f32_e32 v27, v4
	v_exp_f32_e32 v11, v11
	v_cndmask_b32_e64 v14, 0x7f800000, 0, s8
	v_cmp_neq_f32_e64 s8, 0x7f800000, |v1|
	v_fmac_f32_e32 v24, 0x32a5705f, v21
	v_sub_f32_e32 v4, v4, v27
	s_and_b32 vcc_lo, s3, vcc_lo
	s_xor_b32 s0, s0, s6
	v_cndmask_b32_e64 v1, 0, v3, s8
	v_cmp_ngt_f32_e64 s8, 0xc2ce8ed0, v18
	v_add_f32_e32 v4, v4, v24
	v_ldexp_f32 v9, v11, v12
	v_cvt_i32_f32_e32 v3, v27
	v_add_f32_e32 v1, v16, v1
	s_mov_b32 s37, s9
	v_exp_f32_e32 v4, v4
	v_cndmask_b32_e64 v9, 0, v9, s8
	v_cmp_neq_f32_e64 s8, 0x7f800000, |v17|
	v_cvt_f32_f64_e32 v27, s[20:21]
	v_cndmask_b32_e64 v2, 0, v2, s8
	v_cmp_nlt_f32_e64 s8, 0x42b17218, v18
	v_ldexp_f32 v3, v4, v3
	v_add_f32_e32 v2, v10, v2
	v_cndmask_b32_e64 v4, 0x7f800000, v9, s8
	v_cmp_ngt_f32_e64 s8, 0xc2ce8ed0, v21
	v_cndmask_b32_e32 v9, 1.0, v7, vcc_lo
	v_fma_f32 v1, v4, v1, v4
	v_cndmask_b32_e64 v3, 0, v3, s8
	v_cmp_nlt_f32_e64 s8, 0x42b17218, v21
	v_cndmask_b32_e64 v3, 0x7f800000, v3, s8
	v_cmp_class_f32_e64 s8, v4, 0x204
	v_fma_f32 v2, v3, v2, v3
	v_cndmask_b32_e64 v1, v1, v4, s8
	v_cndmask_b32_e64 v4, 0x7f800000, 0, s0
	s_and_b32 s0, s1, s7
	v_cmp_class_f32_e64 s7, v3, 0x204
	v_cndmask_b32_e64 v10, 1.0, v8, s0
	v_bfi_b32 v1, 0x7fffffff, v1, v9
	v_cndmask_b32_e64 v2, v2, v3, s7
	v_cmp_neq_f32_e64 s7, |v8|, 1.0
	v_cndmask_b32_e64 v9, 0x7fc00000, v1, s3
	v_cmp_neq_f32_e64 s3, |v7|, 1.0
	v_bfi_b32 v2, 0x7fffffff, v2, v10
	v_cndmask_b32_e32 v10, 0, v7, vcc_lo
	v_cmp_gt_f32_e32 vcc_lo, 0, v7
	v_cndmask_b32_e64 v11, 1.0, v14, s3
	v_cndmask_b32_e64 v3, 1.0, v19, s7
	v_cndmask_b32_e64 v12, 0x7fc00000, v2, s1
	v_bfi_b32 v4, 0x7fffffff, v4, v10
	v_cndmask_b32_e32 v1, v1, v9, vcc_lo
	v_cmp_class_f32_e64 vcc_lo, v5, 0x204
	v_cndmask_b32_e64 v9, 0, v8, s0
	v_cmp_o_f32_e64 s0, v7, v5
	v_cndmask_b32_e32 v1, v1, v11, vcc_lo
	v_cmp_gt_f32_e32 vcc_lo, 0, v8
	v_bfi_b32 v9, 0x7fffffff, v22, v9
	v_cndmask_b32_e32 v2, v2, v12, vcc_lo
	s_or_b32 vcc_lo, s6, s38
	v_cndmask_b32_e32 v1, v1, v4, vcc_lo
	v_cmp_class_f32_e64 vcc_lo, v6, 0x204
	v_sub_f32_e32 v1, 1.0, v1
	v_cndmask_b32_e32 v2, v2, v3, vcc_lo
	s_or_b32 vcc_lo, s2, s36
	s_load_dwordx2 s[2:3], s[4:5], s30 offset:0x2d0
	s_sub_u32 s18, s26, s18
	v_cndmask_b32_e64 v1, 0x7fc00000, v1, s0
	s_subb_u32 s19, s27, s19
	s_lshl_b64 s[6:7], s[28:29], 17
	v_cndmask_b32_e32 v2, v2, v9, vcc_lo
	s_add_u32 s27, s14, s6
	v_mul_f32_e32 v3, 0x4f800000, v1
	v_cmp_gt_f32_e64 s0, 0xf800000, v1
	s_addc_u32 s28, s15, s7
	s_and_b32 s8, s27, 7
	s_add_u32 s29, s12, s6
	s_addc_u32 s34, s13, s7
	v_cndmask_b32_e64 v1, v1, v3, s0
	s_and_b32 s30, s29, 7
	v_sub_f32_e32 v2, 1.0, v2
	s_cmp_lg_u64 s[30:31], 0
	v_cmp_o_f32_e32 vcc_lo, v8, v6
	v_sqrt_f32_e32 v3, v1
	s_cselect_b32 s38, -1, 0
	s_add_u32 s30, s10, s6
	s_addc_u32 s31, s11, s7
	s_and_b32 s36, s30, 7
	v_cndmask_b32_e32 v31, 0x7fc00000, v2, vcc_lo
	s_cmp_lg_u64 s[36:37], 0
	v_cmp_class_f32_e64 vcc_lo, v1, 0x260
	s_cselect_b32 s37, -1, 0
	s_waitcnt lgkmcnt(0)
	s_add_u32 s20, s2, s6
	v_add_nc_u32_e32 v4, -1, v3
	s_addc_u32 s21, s3, s7
	s_add_u32 s35, s24, s6
	v_add_nc_u32_e32 v5, 1, v3
	s_addc_u32 s36, s25, s7
	v_fma_f32 v7, -v4, v3, v1
	s_or_b32 s1, s35, s20
	s_and_b32 s1, s1, 7
	v_fma_f32 v10, -v5, v3, v1
	s_cmp_lg_u32 s1, 0
	v_cmp_ge_f32_e64 s1, 0, v7
	s_cselect_b32 s39, -1, 0
	s_and_b32 s22, s26, 3
	s_or_b32 s26, s39, s37
	s_or_b64 s[8:9], s[8:9], s[22:23]
	v_cndmask_b32_e64 v3, v3, v4, s1
	v_cmp_lt_f32_e64 s1, 0, v10
	v_cndmask_b32_e64 v3, v3, v5, s1
	s_or_b32 s1, s26, s38
	s_cmp_lg_u64 s[8:9], 0
	s_cselect_b32 s8, -1, 0
	v_mul_f32_e32 v4, 0x37800000, v3
	s_or_b32 s1, s1, s8
	v_cndmask_b32_e64 v3, v3, v4, s0
	s_mov_b32 s0, -1
	v_cndmask_b32_e32 v29, v3, v1, vcc_lo
	s_andn2_b32 vcc_lo, exec_lo, s1
	s_cbranch_vccz .LBB3_22
; %bb.7:
	v_cmp_gt_i64_e64 s0, 0x10000, s[18:19]
	v_mov_b32_e32 v2, 0
	v_lshlrev_b32_e32 v1, 2, v0
	s_mov_b32 s22, exec_lo
	s_and_b32 s0, s0, exec_lo
	s_cselect_b32 s9, s19, 0
	s_cselect_b32 s8, s18, 0x10000
	v_cmpx_gt_i64_e64 s[8:9], v[1:2]
	s_cbranch_execz .LBB3_21
; %bb.8:
	v_div_scale_f32 v1, null, v31, v31, v30
	v_div_scale_f32 v5, vcc_lo, v30, v31, v30
	s_load_dword s1, s[4:5], 0xd34
	v_rcp_f32_e32 v3, v1
	s_cmp_lg_u64 s[16:17], 0
	v_cmp_neq_f32_e64 s0, 0, v27
	v_lshlrev_b32_e32 v32, 3, v0
	s_cselect_b32 s23, -1, 0
	s_mov_b32 s37, 0
	v_fma_f32 v4, -v1, v3, 1.0
	v_fmac_f32_e32 v3, v4, v3
	s_waitcnt lgkmcnt(0)
	s_and_b32 s26, s1, 0xffff
	v_mul_f32_e32 v4, v5, v3
	s_lshl_b32 s38, s26, 3
	v_fma_f32 v6, -v1, v4, v5
	v_fmac_f32_e32 v4, v6, v3
	v_fma_f32 v5, -v1, v4, v5
	v_mov_b32_e32 v1, v2
	v_div_fmas_f32 v3, v5, v3, v4
	v_div_fixup_f32 v33, v3, v31, v30
	v_mov_b32_e32 v4, v1
	v_mov_b32_e32 v3, v0
	s_branch .LBB3_10
.LBB3_9:                                ;   in Loop: Header=BB3_10 Depth=1
	v_cvt_f16_f32_e32 v1, v18
	v_cvt_f16_f32_e32 v11, v37
	;; [unrolled: 1-line block ×4, first 2 shown]
	v_add_co_u32 v3, vcc_lo, v3, s26
	v_cvt_f16_f32_e32 v13, v20
	v_cvt_f16_f32_e32 v18, v35
	v_pack_b32_f16 v12, v11, v1
	v_pack_b32_f16 v11, v17, v14
	v_cvt_f16_f32_e32 v14, v39
	v_cvt_f16_f32_e32 v17, v19
	v_add_co_ci_u32_e64 v4, null, 0, v4, vcc_lo
	global_store_dwordx2 v[9:10], v[11:12], off
	v_pack_b32_f16 v10, v18, v13
	v_pack_b32_f16 v11, v17, v14
	v_lshlrev_b64 v[13:14], 2, v[3:4]
	s_add_u32 s35, s35, s38
	s_addc_u32 s36, s36, 0
	v_cvt_f16_f32_e32 v1, v22
	v_cvt_f16_f32_e32 v15, v15
	s_add_u32 s27, s27, s38
	v_cvt_f16_f32_e32 v16, v16
	v_cvt_f16_f32_e32 v20, v36
	s_addc_u32 s28, s28, 0
	s_add_u32 s20, s20, s38
	v_cmp_le_i64_e32 vcc_lo, s[8:9], v[13:14]
	s_addc_u32 s21, s21, 0
	s_add_u32 s29, s29, s38
	v_pack_b32_f16 v9, v15, v1
	s_addc_u32 s34, s34, 0
	v_pack_b32_f16 v12, v20, v16
	s_add_u32 s30, s30, s38
	s_addc_u32 s31, s31, 0
	s_or_b32 s37, vcc_lo, s37
	global_store_dwordx2 v[5:6], v[9:10], off
	global_store_dwordx2 v[7:8], v[11:12], off
	s_andn2_b32 exec_lo, exec_lo, s37
	s_cbranch_execz .LBB3_21
.LBB3_10:                               ; =>This Inner Loop Header: Depth=1
	v_add_co_u32 v11, s1, s29, v32
	v_add_co_ci_u32_e64 v12, null, s34, 0, s1
	v_add_co_u32 v13, s1, s27, v32
	v_add_co_ci_u32_e64 v14, null, s28, 0, s1
	;; [unrolled: 2-line block ×4, first 2 shown]
	v_add_co_u32 v7, s1, s35, v32
	global_load_dwordx2 v[23:24], v[11:12], off
	v_add_co_ci_u32_e64 v8, null, s36, 0, s1
	global_load_dwordx2 v[19:20], v[13:14], off
	global_load_dwordx2 v[17:18], v[9:10], off
	;; [unrolled: 1-line block ×4, first 2 shown]
	s_andn2_b32 vcc_lo, exec_lo, s23
	s_waitcnt vmcnt(4)
	v_cvt_f32_f16_e32 v1, v23
	s_cbranch_vccnz .LBB3_12
; %bb.11:                               ;   in Loop: Header=BB3_10 Depth=1
	global_load_dword v34, v2, s[16:17]
	s_waitcnt vmcnt(0)
	v_div_scale_f32 v35, null, v34, v34, v1
	v_rcp_f32_e32 v36, v35
	v_fma_f32 v37, -v35, v36, 1.0
	v_fmac_f32_e32 v36, v37, v36
	v_div_scale_f32 v37, vcc_lo, v1, v34, v1
	v_mul_f32_e32 v38, v37, v36
	v_fma_f32 v39, -v35, v38, v37
	v_fmac_f32_e32 v38, v39, v36
	v_fma_f32 v35, -v35, v38, v37
	v_div_fmas_f32 v35, v35, v36, v38
	v_div_fixup_f32 v1, v35, v34, v1
.LBB3_12:                               ;   in Loop: Header=BB3_10 Depth=1
	v_cvt_f32_f16_sdwa v23, v23 dst_sel:DWORD dst_unused:UNUSED_PAD src0_sel:WORD_1
	s_andn2_b32 vcc_lo, exec_lo, s23
	s_cbranch_vccnz .LBB3_14
; %bb.13:                               ;   in Loop: Header=BB3_10 Depth=1
	global_load_dword v34, v2, s[16:17]
	s_waitcnt vmcnt(0)
	v_div_scale_f32 v35, null, v34, v34, v23
	v_rcp_f32_e32 v36, v35
	v_fma_f32 v37, -v35, v36, 1.0
	v_fmac_f32_e32 v36, v37, v36
	v_div_scale_f32 v37, vcc_lo, v23, v34, v23
	v_mul_f32_e32 v38, v37, v36
	v_fma_f32 v39, -v35, v38, v37
	v_fmac_f32_e32 v38, v39, v36
	v_fma_f32 v35, -v35, v38, v37
	v_div_fmas_f32 v35, v35, v36, v38
	v_div_fixup_f32 v23, v35, v34, v23
.LBB3_14:                               ;   in Loop: Header=BB3_10 Depth=1
	v_cvt_f32_f16_e32 v34, v24
	s_andn2_b32 vcc_lo, exec_lo, s23
	s_cbranch_vccnz .LBB3_16
; %bb.15:                               ;   in Loop: Header=BB3_10 Depth=1
	global_load_dword v35, v2, s[16:17]
	s_waitcnt vmcnt(0)
	v_div_scale_f32 v36, null, v35, v35, v34
	v_rcp_f32_e32 v37, v36
	v_fma_f32 v38, -v36, v37, 1.0
	v_fmac_f32_e32 v37, v38, v37
	v_div_scale_f32 v38, vcc_lo, v34, v35, v34
	v_mul_f32_e32 v39, v38, v37
	v_fma_f32 v40, -v36, v39, v38
	v_fmac_f32_e32 v39, v40, v37
	v_fma_f32 v36, -v36, v39, v38
	v_div_fmas_f32 v36, v36, v37, v39
	v_div_fixup_f32 v34, v36, v35, v34
.LBB3_16:                               ;   in Loop: Header=BB3_10 Depth=1
	v_cvt_f32_f16_sdwa v24, v24 dst_sel:DWORD dst_unused:UNUSED_PAD src0_sel:WORD_1
	s_andn2_b32 vcc_lo, exec_lo, s23
	s_cbranch_vccnz .LBB3_18
; %bb.17:                               ;   in Loop: Header=BB3_10 Depth=1
	global_load_dword v35, v2, s[16:17]
	s_waitcnt vmcnt(0)
	v_div_scale_f32 v36, null, v35, v35, v24
	v_rcp_f32_e32 v37, v36
	v_fma_f32 v38, -v36, v37, 1.0
	v_fmac_f32_e32 v37, v38, v37
	v_div_scale_f32 v38, vcc_lo, v24, v35, v24
	v_mul_f32_e32 v39, v38, v37
	v_fma_f32 v40, -v36, v39, v38
	v_fmac_f32_e32 v39, v40, v37
	v_fma_f32 v36, -v36, v39, v38
	v_div_fmas_f32 v36, v36, v37, v39
	v_div_fixup_f32 v24, v36, v35, v24
.LBB3_18:                               ;   in Loop: Header=BB3_10 Depth=1
	v_cndmask_b32_e64 v35, v34, -v34, s33
	s_waitcnt vmcnt(0)
	v_cvt_f32_f16_e32 v36, v22
	v_cvt_f32_f16_e32 v38, v20
	v_fma_mix_f32 v37, v27, v20, v35 op_sel_hi:[0,1,0]
	v_cndmask_b32_e64 v35, v35, v37, s0
	v_fma_f32 v37, -v26, v35, v35
	v_mul_f32_e32 v35, v35, v35
	v_fma_mix_f32 v37, v26, v18, v37 op_sel_hi:[0,1,0]
	v_fma_f32 v35, -v25, v35, v35
	v_fma_mix_f32 v35, v25, v16, v35 op_sel_hi:[0,1,0]
	v_max_f32_e32 v36, v36, v35
	v_cmp_gt_f32_e32 vcc_lo, 0xf800000, v36
	v_mul_f32_e32 v39, 0x4f800000, v36
	v_cndmask_b32_e32 v39, v36, v39, vcc_lo
	v_sqrt_f32_e32 v40, v39
	v_add_nc_u32_e32 v41, -1, v40
	v_fma_f32 v42, -v41, v40, v39
	v_cmp_ge_f32_e64 s1, 0, v42
	v_add_nc_u32_e32 v42, 1, v40
	v_cndmask_b32_e64 v41, v40, v41, s1
	v_fma_f32 v40, -v42, v40, v39
	v_cmp_lt_f32_e64 s1, 0, v40
	v_cndmask_b32_e64 v40, v41, v42, s1
	v_mul_f32_e32 v41, 0x37800000, v40
	v_cndmask_b32_e32 v40, v40, v41, vcc_lo
	v_cmp_class_f32_e64 vcc_lo, v39, 0x260
	v_cndmask_b32_e32 v39, v40, v39, vcc_lo
	v_div_scale_f32 v40, null, v29, v29, v39
	v_rcp_f32_e32 v41, v40
	v_fma_f32 v42, -v40, v41, 1.0
	v_fmac_f32_e32 v41, v42, v41
	v_div_scale_f32 v42, vcc_lo, v39, v29, v39
	v_mul_f32_e32 v43, v42, v41
	v_fma_f32 v44, -v40, v43, v42
	v_fmac_f32_e32 v43, v44, v41
	v_fma_f32 v40, -v40, v43, v42
	v_div_fmas_f32 v40, v40, v41, v43
	v_div_fixup_f32 v39, v40, v29, v39
	v_mul_f32_e32 v40, v33, v37
	v_add_f32_e32 v39, v39, v28
	v_div_scale_f32 v41, null, v39, v39, v40
	v_rcp_f32_e32 v42, v41
	v_fma_f32 v43, -v41, v42, 1.0
	v_fmac_f32_e32 v42, v43, v42
	v_div_scale_f32 v43, vcc_lo, v40, v39, v40
	v_mul_f32_e32 v44, v43, v42
	v_fma_f32 v45, -v41, v44, v43
	v_fmac_f32_e32 v44, v45, v42
	v_fma_f32 v41, -v41, v44, v43
	v_cvt_f32_f16_sdwa v43, v19 dst_sel:DWORD dst_unused:UNUSED_PAD src0_sel:WORD_1
	v_div_fmas_f32 v41, v41, v42, v44
	v_cvt_f32_f16_sdwa v42, v22 dst_sel:DWORD dst_unused:UNUSED_PAD src0_sel:WORD_1
	v_cndmask_b32_e64 v22, v23, -v23, s33
	v_div_fixup_f32 v39, v41, v39, v40
	v_cvt_f32_f16_sdwa v41, v20 dst_sel:DWORD dst_unused:UNUSED_PAD src0_sel:WORD_1
	v_sub_f32_e32 v38, v38, v39
	v_cvt_f32_f16_sdwa v39, v21 dst_sel:DWORD dst_unused:UNUSED_PAD src0_sel:WORD_1
	v_cvt_f32_f16_e32 v21, v21
	v_cvt_f16_f32_e32 v40, v38
	v_fma_mix_f32 v38, v27, v19, v22 op_sel:[0,1,0] op_sel_hi:[0,1,0]
	v_cndmask_b32_e64 v22, v22, v38, s0
	v_fma_f32 v38, -v26, v22, v22
	v_mul_f32_e32 v22, v22, v22
	v_fma_mix_f32 v38, v26, v17, v38 op_sel:[0,1,0] op_sel_hi:[0,1,0]
	v_fma_f32 v22, -v25, v22, v22
	v_fma_mix_f32 v22, v25, v15, v22 op_sel:[0,1,0] op_sel_hi:[0,1,0]
	v_max_f32_e32 v39, v39, v22
	v_cmp_gt_f32_e32 vcc_lo, 0xf800000, v39
	v_mul_f32_e32 v44, 0x4f800000, v39
	v_cndmask_b32_e32 v44, v39, v44, vcc_lo
	v_sqrt_f32_e32 v45, v44
	v_add_nc_u32_e32 v46, -1, v45
	v_fma_f32 v47, -v46, v45, v44
	v_cmp_ge_f32_e64 s1, 0, v47
	v_add_nc_u32_e32 v47, 1, v45
	v_cndmask_b32_e64 v46, v45, v46, s1
	v_fma_f32 v45, -v47, v45, v44
	v_cmp_lt_f32_e64 s1, 0, v45
	v_cndmask_b32_e64 v45, v46, v47, s1
	v_mul_f32_e32 v46, 0x37800000, v45
	v_cndmask_b32_e32 v45, v45, v46, vcc_lo
	v_cmp_class_f32_e64 vcc_lo, v44, 0x260
	v_cndmask_b32_e32 v44, v45, v44, vcc_lo
	v_div_scale_f32 v45, null, v29, v29, v44
	v_rcp_f32_e32 v46, v45
	v_fma_f32 v47, -v45, v46, 1.0
	v_fmac_f32_e32 v46, v47, v46
	v_div_scale_f32 v47, vcc_lo, v44, v29, v44
	v_mul_f32_e32 v48, v47, v46
	v_fma_f32 v49, -v45, v48, v47
	v_fmac_f32_e32 v48, v49, v46
	v_fma_f32 v45, -v45, v48, v47
	v_div_fmas_f32 v45, v45, v46, v48
	v_div_fixup_f32 v44, v45, v29, v44
	v_mul_f32_e32 v45, v33, v38
	v_add_f32_e32 v44, v44, v28
	v_div_scale_f32 v46, null, v44, v44, v45
	v_rcp_f32_e32 v47, v46
	v_fma_f32 v48, -v46, v47, 1.0
	v_fmac_f32_e32 v47, v48, v47
	v_div_scale_f32 v48, vcc_lo, v45, v44, v45
	v_mul_f32_e32 v49, v48, v47
	v_fma_f32 v50, -v46, v49, v48
	v_fmac_f32_e32 v49, v50, v47
	v_fma_f32 v46, -v46, v49, v48
	v_div_fmas_f32 v46, v46, v47, v49
	v_div_fixup_f32 v44, v46, v44, v45
	v_cndmask_b32_e64 v45, v1, -v1, s33
	v_sub_f32_e32 v43, v43, v44
	v_cvt_f32_f16_e32 v44, v19
	v_fma_mix_f32 v19, v27, v19, v45 op_sel_hi:[0,1,0]
	v_cvt_f16_f32_e32 v43, v43
	v_cndmask_b32_e64 v19, v45, v19, s0
	v_fma_f32 v45, -v26, v19, v19
	v_mul_f32_e32 v19, v19, v19
	v_fma_mix_f32 v17, v26, v17, v45 op_sel_hi:[0,1,0]
	v_fma_f32 v19, -v25, v19, v19
	v_fma_mix_f32 v15, v25, v15, v19 op_sel_hi:[0,1,0]
	v_max_f32_e32 v19, v21, v15
	v_cmp_gt_f32_e32 vcc_lo, 0xf800000, v19
	v_mul_f32_e32 v21, 0x4f800000, v19
	v_cndmask_b32_e32 v21, v19, v21, vcc_lo
	v_sqrt_f32_e32 v45, v21
	v_add_nc_u32_e32 v46, -1, v45
	v_fma_f32 v47, -v46, v45, v21
	v_cmp_ge_f32_e64 s1, 0, v47
	v_add_nc_u32_e32 v47, 1, v45
	v_cndmask_b32_e64 v46, v45, v46, s1
	v_fma_f32 v45, -v47, v45, v21
	v_cmp_lt_f32_e64 s1, 0, v45
	v_cndmask_b32_e64 v45, v46, v47, s1
	v_mul_f32_e32 v46, 0x37800000, v45
	v_cndmask_b32_e32 v45, v45, v46, vcc_lo
	v_cmp_class_f32_e64 vcc_lo, v21, 0x260
	v_cndmask_b32_e32 v21, v45, v21, vcc_lo
	v_div_scale_f32 v45, null, v29, v29, v21
	v_rcp_f32_e32 v46, v45
	v_fma_f32 v47, -v45, v46, 1.0
	v_fmac_f32_e32 v46, v47, v46
	v_div_scale_f32 v47, vcc_lo, v21, v29, v21
	v_mul_f32_e32 v48, v47, v46
	v_fma_f32 v49, -v45, v48, v47
	v_fmac_f32_e32 v48, v49, v46
	v_fma_f32 v45, -v45, v48, v47
	v_div_fmas_f32 v45, v45, v46, v48
	v_div_fixup_f32 v21, v45, v29, v21
	v_mul_f32_e32 v45, v33, v17
	v_add_f32_e32 v21, v21, v28
	v_div_scale_f32 v46, null, v21, v21, v45
	v_rcp_f32_e32 v47, v46
	v_fma_f32 v48, -v46, v47, 1.0
	v_fmac_f32_e32 v47, v48, v47
	v_div_scale_f32 v48, vcc_lo, v45, v21, v45
	v_mul_f32_e32 v49, v48, v47
	v_fma_f32 v50, -v46, v49, v48
	v_fmac_f32_e32 v49, v50, v47
	v_fma_f32 v46, -v46, v49, v48
	v_div_fmas_f32 v46, v46, v47, v49
	v_div_fixup_f32 v21, v46, v21, v45
	v_sub_f32_e32 v21, v44, v21
	v_cndmask_b32_e64 v44, v24, -v24, s33
	v_cvt_f16_f32_e32 v21, v21
	v_fma_mix_f32 v20, v27, v20, v44 op_sel:[0,1,0] op_sel_hi:[0,1,0]
	v_cndmask_b32_e64 v20, v44, v20, s0
	v_fma_f32 v44, -v26, v20, v20
	v_mul_f32_e32 v20, v20, v20
	v_fma_mix_f32 v18, v26, v18, v44 op_sel:[0,1,0] op_sel_hi:[0,1,0]
	v_fma_f32 v20, -v25, v20, v20
	v_fma_mix_f32 v20, v25, v16, v20 op_sel:[0,1,0] op_sel_hi:[0,1,0]
	v_max_f32_e32 v16, v42, v20
	v_cmp_gt_f32_e32 vcc_lo, 0xf800000, v16
	v_mul_f32_e32 v42, 0x4f800000, v16
	v_cndmask_b32_e32 v42, v16, v42, vcc_lo
	v_sqrt_f32_e32 v44, v42
	v_add_nc_u32_e32 v45, -1, v44
	v_fma_f32 v46, -v45, v44, v42
	v_cmp_ge_f32_e64 s1, 0, v46
	v_add_nc_u32_e32 v46, 1, v44
	v_cndmask_b32_e64 v45, v44, v45, s1
	v_fma_f32 v44, -v46, v44, v42
	v_cmp_lt_f32_e64 s1, 0, v44
	v_cndmask_b32_e64 v44, v45, v46, s1
	v_mul_f32_e32 v45, 0x37800000, v44
	v_cndmask_b32_e32 v44, v44, v45, vcc_lo
	v_cmp_class_f32_e64 vcc_lo, v42, 0x260
	v_cndmask_b32_e32 v42, v44, v42, vcc_lo
	v_div_scale_f32 v44, null, v29, v29, v42
	v_rcp_f32_e32 v45, v44
	v_fma_f32 v46, -v44, v45, 1.0
	v_fmac_f32_e32 v45, v46, v45
	v_div_scale_f32 v46, vcc_lo, v42, v29, v42
	v_mul_f32_e32 v47, v46, v45
	v_fma_f32 v48, -v44, v47, v46
	v_fmac_f32_e32 v47, v48, v45
	v_fma_f32 v44, -v44, v47, v46
	v_div_fmas_f32 v44, v44, v45, v47
	v_div_fixup_f32 v42, v44, v29, v42
	v_mul_f32_e32 v44, v33, v18
	v_add_f32_e32 v42, v42, v28
	v_div_scale_f32 v45, null, v42, v42, v44
	v_rcp_f32_e32 v46, v45
	v_fma_f32 v47, -v45, v46, 1.0
	v_fmac_f32_e32 v46, v47, v46
	v_div_scale_f32 v47, vcc_lo, v44, v42, v44
	v_mul_f32_e32 v48, v47, v46
	v_fma_f32 v49, -v45, v48, v47
	v_fmac_f32_e32 v48, v49, v46
	v_fma_f32 v45, -v45, v48, v47
	v_div_fmas_f32 v45, v45, v46, v48
	s_andn2_b32 vcc_lo, exec_lo, s23
	v_div_fixup_f32 v42, v45, v42, v44
	v_sub_f32_e32 v41, v41, v42
	v_cvt_f16_f32_e32 v41, v41
	v_pack_b32_f16 v41, v40, v41
	v_pack_b32_f16 v40, v21, v43
	global_store_dwordx2 v[13:14], v[40:41], off
	s_cbranch_vccnz .LBB3_9
; %bb.19:                               ;   in Loop: Header=BB3_10 Depth=1
	v_cvt_f16_f32_e32 v13, v34
	v_cvt_f16_f32_e32 v21, v23
	;; [unrolled: 1-line block ×4, first 2 shown]
	v_pack_b32_f16 v14, v13, v14
	v_pack_b32_f16 v13, v1, v21
	global_store_dwordx2 v[11:12], v[13:14], off
	s_branch .LBB3_9
.LBB3_20:
                                        ; implicit-def: $sgpr6
	v_mov_b32_e32 v30, s6
	s_branch .LBB3_2
.LBB3_21:
	s_or_b32 exec_lo, exec_lo, s22
	s_mov_b32 s0, 0
.LBB3_22:
	s_andn2_b32 vcc_lo, exec_lo, s0
	s_cbranch_vccnz .LBB3_100
; %bb.23:
	v_cmp_lt_i64_e64 s0, s[18:19], 1
	s_and_b32 vcc_lo, exec_lo, s0
	s_cbranch_vccnz .LBB3_100
; %bb.24:
	v_div_scale_f32 v11, null, v31, v31, v30
	s_load_dword s4, s[4:5], 0xd34
	v_div_scale_f32 v13, vcc_lo, v30, v31, v30
	v_rcp_f32_e32 v12, v11
	v_lshlrev_b32_e32 v1, 1, v0
	v_cmp_gt_i64_e64 s1, 0x10000, s[18:19]
	v_mov_b32_e32 v2, 0
	v_cmp_gt_u64_e64 s5, 0x10000, s[18:19]
	v_cmp_neq_f32_e64 s0, 0, v27
	v_add_co_u32 v3, s8, s14, v1
	v_add_co_ci_u32_e64 v4, null, s15, 0, s8
	v_fma_f32 v7, -v11, v12, 1.0
	v_add_co_u32 v5, s8, s12, v1
	v_add_co_ci_u32_e64 v6, null, s13, 0, s8
	v_fmac_f32_e32 v12, v7, v12
	v_add_co_u32 v7, s8, s10, v1
	v_add_co_ci_u32_e64 v8, null, s11, 0, s8
	v_mul_f32_e32 v14, v13, v12
	v_add_co_u32 v9, s8, s2, v1
	s_and_b32 s1, s1, exec_lo
	v_add_co_ci_u32_e64 v10, null, s3, 0, s8
	v_fma_f32 v15, -v11, v14, v13
	s_cselect_b32 s9, s19, 0
	s_cselect_b32 s8, s18, 0x10000
	s_waitcnt lgkmcnt(0)
	s_and_b32 s1, s4, 0xffff
	s_and_b32 s4, s5, exec_lo
	v_fmac_f32_e32 v14, v15, v12
	v_mad_u64_u32 v[22:23], null, s1, 6, v[1:2]
	s_cselect_b32 s19, s19, 0
	s_cselect_b32 s18, s18, 0x10000
	v_fma_f32 v11, -v11, v14, v13
	s_lshl_b32 s4, s1, 1
	s_cmp_lg_u64 s[16:17], 0
	s_mul_i32 s5, s1, 3
	s_cselect_b32 s20, -1, 0
	v_div_fmas_f32 v11, v11, v12, v14
	s_lshl_b32 s21, s1, 2
	v_add_co_u32 v12, s22, s24, v1
	v_add_co_u32 v14, vcc_lo, s14, v22
	v_add_co_ci_u32_e64 v13, null, s25, 0, s22
	v_add_co_ci_u32_e64 v15, null, s15, v23, vcc_lo
	v_add_co_u32 v16, vcc_lo, s12, v22
	v_add_co_u32 v39, s22, s21, v1
	v_add_co_u32 v1, s5, s5, v0
	v_add_co_ci_u32_e64 v17, null, s13, v23, vcc_lo
	v_add_co_u32 v18, vcc_lo, s10, v22
	v_add_co_ci_u32_e64 v24, null, 0, 0, s5
	v_add_co_u32 v38, s5, v0, s1
	v_add_co_ci_u32_e64 v19, null, s11, v23, vcc_lo
	v_add_co_u32 v20, vcc_lo, s2, v22
	v_add_co_ci_u32_e64 v40, null, 0, 0, s22
	v_add_co_ci_u32_e64 v21, null, s3, v23, vcc_lo
	v_add_co_u32 v22, vcc_lo, s24, v22
	v_lshlrev_b32_e32 v52, 1, v38
	v_div_fixup_f32 v11, v11, v31, v30
	v_add_co_ci_u32_e64 v23, null, s25, v23, vcc_lo
	v_add_co_u32 v30, vcc_lo, s14, v39
	v_add_co_ci_u32_e64 v31, null, s15, v40, vcc_lo
	v_add_co_u32 v32, vcc_lo, s12, v39
	v_add_co_u32 v42, s4, s4, v0
	v_add_co_ci_u32_e64 v33, null, s13, v40, vcc_lo
	v_add_co_u32 v34, vcc_lo, s10, v39
	v_add_co_ci_u32_e64 v43, null, 0, 0, s4
	v_add_co_u32 v44, s4, s14, v52
	v_add_co_ci_u32_e64 v35, null, s11, v40, vcc_lo
	v_add_co_u32 v36, vcc_lo, s2, v39
	v_add_co_ci_u32_e64 v45, null, s15, 0, s4
	v_add_co_u32 v46, s4, s12, v52
	v_add_co_u32 v50, s2, s2, v52
	v_add_co_ci_u32_e64 v37, null, s3, v40, vcc_lo
	v_add_co_u32 v39, vcc_lo, s24, v39
	v_add_co_ci_u32_e64 v47, null, s13, 0, s4
	v_add_co_u32 v48, s4, s10, v52
	v_add_co_ci_u32_e64 v51, null, s3, 0, s2
	v_add_co_u32 v52, s2, s24, v52
	v_add_co_ci_u32_e64 v40, null, s25, v40, vcc_lo
	v_add_co_ci_u32_e64 v41, null, 0, 0, s5
	v_add_co_ci_u32_e64 v49, null, s11, 0, s4
	;; [unrolled: 1-line block ×3, first 2 shown]
	s_mov_b64 s[10:11], 0
	s_lshl_b32 s12, s1, 3
	s_branch .LBB3_26
.LBB3_25:                               ;   in Loop: Header=BB3_26 Depth=1
	s_or_b32 exec_lo, exec_lo, s1
	v_add_co_u32 v3, vcc_lo, v3, s12
	v_add_co_ci_u32_e64 v4, null, 0, v4, vcc_lo
	v_add_co_u32 v5, vcc_lo, v5, s12
	v_add_co_ci_u32_e64 v6, null, 0, v6, vcc_lo
	;; [unrolled: 2-line block ×16, first 2 shown]
	v_add_co_u32 v46, vcc_lo, v46, s12
	s_add_u32 s10, s10, s21
	v_add_co_ci_u32_e64 v47, null, 0, v47, vcc_lo
	v_add_co_u32 v48, vcc_lo, v48, s12
	s_addc_u32 s11, s11, 0
	v_add_co_ci_u32_e64 v49, null, 0, v49, vcc_lo
	v_add_co_u32 v50, vcc_lo, v50, s12
	v_cmp_ge_i64_e64 s1, s[10:11], s[8:9]
	v_add_co_ci_u32_e64 v51, null, 0, v51, vcc_lo
	v_add_co_u32 v52, vcc_lo, v52, s12
	v_add_co_ci_u32_e64 v53, null, 0, v53, vcc_lo
	s_and_b32 vcc_lo, exec_lo, s1
	s_cbranch_vccnz .LBB3_100
.LBB3_26:                               ; =>This Inner Loop Header: Depth=1
	v_add_co_u32 v54, s1, v0, s10
	v_add_co_ci_u32_e64 v55, null, 0, s11, s1
	v_mov_b32_e32 v62, 0
	v_cmp_gt_u64_e64 s1, s[18:19], v[54:55]
	v_mov_b32_e32 v54, 0
	s_and_saveexec_b32 s2, s1
	s_cbranch_execz .LBB3_28
; %bb.27:                               ;   in Loop: Header=BB3_26 Depth=1
	v_add_co_u32 v54, vcc_lo, v3, s6
	v_add_co_ci_u32_e64 v55, null, s7, v4, vcc_lo
	v_add_co_u32 v56, vcc_lo, v5, s6
	v_add_co_ci_u32_e64 v57, null, s7, v6, vcc_lo
	global_load_ushort v54, v[54:55], off
	global_load_ushort v55, v[56:57], off
	s_waitcnt vmcnt(1)
	v_cvt_f32_f16_e32 v62, v54
	s_waitcnt vmcnt(0)
	v_cvt_f32_f16_e32 v54, v55
.LBB3_28:                               ;   in Loop: Header=BB3_26 Depth=1
	s_or_b32 exec_lo, exec_lo, s2
	v_mov_b32_e32 v58, 0
	v_mov_b32_e32 v73, 0
	v_mov_b32_e32 v72, 0
	s_and_saveexec_b32 s2, s1
	s_cbranch_execz .LBB3_30
; %bb.29:                               ;   in Loop: Header=BB3_26 Depth=1
	v_add_co_u32 v55, vcc_lo, v7, s6
	v_add_co_ci_u32_e64 v56, null, s7, v8, vcc_lo
	v_add_co_u32 v59, vcc_lo, v9, s6
	v_add_co_ci_u32_e64 v60, null, s7, v10, vcc_lo
	global_load_ushort v55, v[55:56], off
	global_load_ushort v56, v[59:60], off
	s_waitcnt vmcnt(1)
	v_cvt_f32_f16_e32 v72, v55
	s_waitcnt vmcnt(0)
	v_cvt_f32_f16_e32 v73, v56
.LBB3_30:                               ;   in Loop: Header=BB3_26 Depth=1
	s_or_b32 exec_lo, exec_lo, s2
	s_and_saveexec_b32 s2, s1
	s_cbranch_execz .LBB3_32
; %bb.31:                               ;   in Loop: Header=BB3_26 Depth=1
	v_add_co_u32 v55, vcc_lo, v12, s6
	v_add_co_ci_u32_e64 v56, null, s7, v13, vcc_lo
	global_load_ushort v55, v[55:56], off
	s_waitcnt vmcnt(0)
	v_cvt_f32_f16_e32 v58, v55
.LBB3_32:                               ;   in Loop: Header=BB3_26 Depth=1
	s_or_b32 exec_lo, exec_lo, s2
	v_add_co_u32 v55, vcc_lo, v38, s10
	v_add_co_ci_u32_e64 v56, null, s11, v41, vcc_lo
	v_mov_b32_e32 v65, 0
	v_mov_b32_e32 v61, 0
	v_cmp_gt_u64_e64 s2, s[18:19], v[55:56]
	v_mov_b32_e32 v55, 0
	s_and_saveexec_b32 s3, s2
	s_cbranch_execz .LBB3_34
; %bb.33:                               ;   in Loop: Header=BB3_26 Depth=1
	v_add_co_u32 v55, vcc_lo, v44, s6
	v_add_co_ci_u32_e64 v56, null, s7, v45, vcc_lo
	v_add_co_u32 v59, vcc_lo, v46, s6
	v_add_co_ci_u32_e64 v60, null, s7, v47, vcc_lo
	global_load_ushort v55, v[55:56], off
	global_load_ushort v56, v[59:60], off
	s_waitcnt vmcnt(1)
	v_cvt_f32_f16_e32 v61, v55
	s_waitcnt vmcnt(0)
	v_cvt_f32_f16_e32 v55, v56
.LBB3_34:                               ;   in Loop: Header=BB3_26 Depth=1
	s_or_b32 exec_lo, exec_lo, s3
	v_mov_b32_e32 v70, 0
	s_and_saveexec_b32 s3, s2
	s_cbranch_execz .LBB3_36
; %bb.35:                               ;   in Loop: Header=BB3_26 Depth=1
	v_add_co_u32 v56, vcc_lo, v48, s6
	v_add_co_ci_u32_e64 v57, null, s7, v49, vcc_lo
	v_add_co_u32 v59, vcc_lo, v50, s6
	v_add_co_ci_u32_e64 v60, null, s7, v51, vcc_lo
	global_load_ushort v56, v[56:57], off
	global_load_ushort v57, v[59:60], off
	s_waitcnt vmcnt(1)
	v_cvt_f32_f16_e32 v70, v56
	s_waitcnt vmcnt(0)
	v_cvt_f32_f16_e32 v65, v57
.LBB3_36:                               ;   in Loop: Header=BB3_26 Depth=1
	s_or_b32 exec_lo, exec_lo, s3
	v_mov_b32_e32 v56, 0
	v_mov_b32_e32 v75, 0
	s_and_saveexec_b32 s3, s2
	s_cbranch_execz .LBB3_38
; %bb.37:                               ;   in Loop: Header=BB3_26 Depth=1
	v_add_co_u32 v59, vcc_lo, v52, s6
	v_add_co_ci_u32_e64 v60, null, s7, v53, vcc_lo
	global_load_ushort v57, v[59:60], off
	s_waitcnt vmcnt(0)
	v_cvt_f32_f16_e32 v75, v57
.LBB3_38:                               ;   in Loop: Header=BB3_26 Depth=1
	s_or_b32 exec_lo, exec_lo, s3
	v_add_co_u32 v59, vcc_lo, v42, s10
	v_add_co_ci_u32_e64 v60, null, s11, v43, vcc_lo
	v_cmp_gt_u64_e64 s3, s[18:19], v[59:60]
	v_mov_b32_e32 v60, 0
	s_and_saveexec_b32 s4, s3
	s_cbranch_execz .LBB3_40
; %bb.39:                               ;   in Loop: Header=BB3_26 Depth=1
	v_add_co_u32 v56, vcc_lo, v30, s6
	v_add_co_ci_u32_e64 v57, null, s7, v31, vcc_lo
	v_add_co_u32 v59, vcc_lo, v32, s6
	v_add_co_ci_u32_e64 v60, null, s7, v33, vcc_lo
	global_load_ushort v56, v[56:57], off
	global_load_ushort v57, v[59:60], off
	s_waitcnt vmcnt(1)
	v_cvt_f32_f16_e32 v60, v56
	s_waitcnt vmcnt(0)
	v_cvt_f32_f16_e32 v56, v57
.LBB3_40:                               ;   in Loop: Header=BB3_26 Depth=1
	s_or_b32 exec_lo, exec_lo, s4
	v_mov_b32_e32 v66, 0
	v_mov_b32_e32 v71, 0
	;; [unrolled: 1-line block ×3, first 2 shown]
	s_and_saveexec_b32 s4, s3
	s_cbranch_execz .LBB3_42
; %bb.41:                               ;   in Loop: Header=BB3_26 Depth=1
	v_add_co_u32 v63, vcc_lo, v34, s6
	v_add_co_ci_u32_e64 v64, null, s7, v35, vcc_lo
	v_add_co_u32 v67, vcc_lo, v36, s6
	v_add_co_ci_u32_e64 v68, null, s7, v37, vcc_lo
	global_load_ushort v57, v[63:64], off
	global_load_ushort v59, v[67:68], off
	s_waitcnt vmcnt(1)
	v_cvt_f32_f16_e32 v68, v57
	s_waitcnt vmcnt(0)
	v_cvt_f32_f16_e32 v71, v59
.LBB3_42:                               ;   in Loop: Header=BB3_26 Depth=1
	s_or_b32 exec_lo, exec_lo, s4
	s_and_saveexec_b32 s4, s3
	s_cbranch_execz .LBB3_44
; %bb.43:                               ;   in Loop: Header=BB3_26 Depth=1
	v_add_co_u32 v63, vcc_lo, v39, s6
	v_add_co_ci_u32_e64 v64, null, s7, v40, vcc_lo
	global_load_ushort v57, v[63:64], off
	s_waitcnt vmcnt(0)
	v_cvt_f32_f16_e32 v66, v57
.LBB3_44:                               ;   in Loop: Header=BB3_26 Depth=1
	s_or_b32 exec_lo, exec_lo, s4
	v_add_co_u32 v76, vcc_lo, v1, s10
	v_add_co_ci_u32_e64 v77, null, s11, v24, vcc_lo
	v_mov_b32_e32 v64, 0
	v_mov_b32_e32 v57, 0
	;; [unrolled: 1-line block ×3, first 2 shown]
	v_cmp_gt_u64_e64 s4, s[18:19], v[76:77]
	s_and_saveexec_b32 s5, s4
	s_cbranch_execnz .LBB3_82
; %bb.45:                               ;   in Loop: Header=BB3_26 Depth=1
	s_or_b32 exec_lo, exec_lo, s5
	v_mov_b32_e32 v67, 0
	s_and_saveexec_b32 s5, s4
	s_cbranch_execnz .LBB3_83
.LBB3_46:                               ;   in Loop: Header=BB3_26 Depth=1
	s_or_b32 exec_lo, exec_lo, s5
	v_mov_b32_e32 v74, 0
	s_and_saveexec_b32 s5, s4
	s_cbranch_execnz .LBB3_84
.LBB3_47:                               ;   in Loop: Header=BB3_26 Depth=1
	s_or_b32 exec_lo, exec_lo, s5
	s_andn2_b32 vcc_lo, exec_lo, s20
	s_cbranch_vccnz .LBB3_49
.LBB3_48:                               ;   in Loop: Header=BB3_26 Depth=1
	global_load_dword v63, v2, s[16:17]
	s_waitcnt vmcnt(0)
	v_div_scale_f32 v69, null, v63, v63, v54
	v_rcp_f32_e32 v76, v69
	v_fma_f32 v77, -v69, v76, 1.0
	v_fmac_f32_e32 v76, v77, v76
	v_div_scale_f32 v77, vcc_lo, v54, v63, v54
	v_mul_f32_e32 v78, v77, v76
	v_fma_f32 v79, -v69, v78, v77
	v_fmac_f32_e32 v78, v79, v76
	v_fma_f32 v69, -v69, v78, v77
	v_div_fmas_f32 v69, v69, v76, v78
	v_div_fixup_f32 v54, v69, v63, v54
.LBB3_49:                               ;   in Loop: Header=BB3_26 Depth=1
	s_andn2_b32 vcc_lo, exec_lo, s20
	s_cbranch_vccnz .LBB3_51
; %bb.50:                               ;   in Loop: Header=BB3_26 Depth=1
	global_load_dword v63, v2, s[16:17]
	s_waitcnt vmcnt(0)
	v_div_scale_f32 v69, null, v63, v63, v55
	v_rcp_f32_e32 v76, v69
	v_fma_f32 v77, -v69, v76, 1.0
	v_fmac_f32_e32 v76, v77, v76
	v_div_scale_f32 v77, vcc_lo, v55, v63, v55
	v_mul_f32_e32 v78, v77, v76
	v_fma_f32 v79, -v69, v78, v77
	v_fmac_f32_e32 v78, v79, v76
	v_fma_f32 v69, -v69, v78, v77
	v_div_fmas_f32 v69, v69, v76, v78
	v_div_fixup_f32 v55, v69, v63, v55
.LBB3_51:                               ;   in Loop: Header=BB3_26 Depth=1
	s_andn2_b32 vcc_lo, exec_lo, s20
	s_cbranch_vccnz .LBB3_53
; %bb.52:                               ;   in Loop: Header=BB3_26 Depth=1
	global_load_dword v63, v2, s[16:17]
	s_waitcnt vmcnt(0)
	v_div_scale_f32 v69, null, v63, v63, v56
	v_rcp_f32_e32 v76, v69
	v_fma_f32 v77, -v69, v76, 1.0
	v_fmac_f32_e32 v76, v77, v76
	v_div_scale_f32 v77, vcc_lo, v56, v63, v56
	v_mul_f32_e32 v78, v77, v76
	v_fma_f32 v79, -v69, v78, v77
	v_fmac_f32_e32 v78, v79, v76
	v_fma_f32 v69, -v69, v78, v77
	v_div_fmas_f32 v69, v69, v76, v78
	v_div_fixup_f32 v56, v69, v63, v56
.LBB3_53:                               ;   in Loop: Header=BB3_26 Depth=1
	s_andn2_b32 vcc_lo, exec_lo, s20
	s_cbranch_vccnz .LBB3_55
; %bb.54:                               ;   in Loop: Header=BB3_26 Depth=1
	global_load_dword v63, v2, s[16:17]
	s_waitcnt vmcnt(0)
	v_div_scale_f32 v69, null, v63, v63, v57
	v_rcp_f32_e32 v76, v69
	v_fma_f32 v77, -v69, v76, 1.0
	v_fmac_f32_e32 v76, v77, v76
	v_div_scale_f32 v77, vcc_lo, v57, v63, v57
	v_mul_f32_e32 v78, v77, v76
	v_fma_f32 v79, -v69, v78, v77
	v_fmac_f32_e32 v78, v79, v76
	v_fma_f32 v69, -v69, v78, v77
	v_div_fmas_f32 v69, v69, v76, v78
	v_div_fixup_f32 v57, v69, v63, v57
.LBB3_55:                               ;   in Loop: Header=BB3_26 Depth=1
	v_cndmask_b32_e64 v63, v54, -v54, s33
	v_max_f32_e32 v58, v58, v58
	v_fma_f32 v69, v62, v27, v63
	v_cndmask_b32_e64 v69, v63, v69, s0
	v_mul_f32_e32 v63, v69, v69
	v_fma_f32 v69, -v26, v69, v69
	v_fma_f32 v63, -v25, v63, v63
	v_fmac_f32_e32 v69, v26, v72
	v_fmac_f32_e32 v63, v25, v73
	v_max_f32_e32 v58, v58, v63
	s_and_saveexec_b32 s13, s1
	s_cbranch_execz .LBB3_57
; %bb.56:                               ;   in Loop: Header=BB3_26 Depth=1
	v_mul_f32_e32 v72, 0x4f800000, v58
	v_cmp_gt_f32_e32 vcc_lo, 0xf800000, v58
	v_cndmask_b32_e32 v72, v58, v72, vcc_lo
	v_sqrt_f32_e32 v73, v72
	v_add_nc_u32_e32 v76, -1, v73
	v_add_nc_u32_e32 v77, 1, v73
	v_fma_f32 v78, -v76, v73, v72
	v_fma_f32 v79, -v77, v73, v72
	v_cmp_ge_f32_e64 s5, 0, v78
	v_cndmask_b32_e64 v73, v73, v76, s5
	v_cmp_lt_f32_e64 s5, 0, v79
	v_cndmask_b32_e64 v73, v73, v77, s5
	v_mul_f32_e32 v76, 0x37800000, v73
	v_cndmask_b32_e32 v73, v73, v76, vcc_lo
	v_cmp_class_f32_e64 vcc_lo, v72, 0x260
	v_cndmask_b32_e32 v72, v73, v72, vcc_lo
	v_div_scale_f32 v73, null, v29, v29, v72
	v_div_scale_f32 v78, vcc_lo, v72, v29, v72
	v_rcp_f32_e32 v76, v73
	v_fma_f32 v77, -v73, v76, 1.0
	v_fmac_f32_e32 v76, v77, v76
	v_mul_f32_e32 v77, v78, v76
	v_fma_f32 v79, -v73, v77, v78
	v_fmac_f32_e32 v77, v79, v76
	v_fma_f32 v73, -v73, v77, v78
	v_div_fmas_f32 v73, v73, v76, v77
	v_div_fixup_f32 v72, v73, v29, v72
	v_mul_f32_e32 v73, v11, v69
	v_add_f32_e32 v72, v72, v28
	v_div_scale_f32 v76, null, v72, v72, v73
	v_div_scale_f32 v79, vcc_lo, v73, v72, v73
	v_rcp_f32_e32 v77, v76
	v_fma_f32 v78, -v76, v77, 1.0
	v_fmac_f32_e32 v77, v78, v77
	v_mul_f32_e32 v78, v79, v77
	v_fma_f32 v80, -v76, v78, v79
	v_fmac_f32_e32 v78, v80, v77
	v_fma_f32 v76, -v76, v78, v79
	v_div_fmas_f32 v76, v76, v77, v78
	v_div_fixup_f32 v72, v76, v72, v73
	v_sub_f32_e32 v62, v62, v72
	v_add_co_u32 v72, vcc_lo, v3, s6
	v_add_co_ci_u32_e64 v73, null, s7, v4, vcc_lo
	v_cvt_f16_f32_e32 v62, v62
	global_store_short v[72:73], v62, off
.LBB3_57:                               ;   in Loop: Header=BB3_26 Depth=1
	s_or_b32 exec_lo, exec_lo, s13
	v_cndmask_b32_e64 v62, v55, -v55, s33
	v_fma_f32 v72, v61, v27, v62
	v_cndmask_b32_e64 v62, v62, v72, s0
	v_mul_f32_e32 v72, v62, v62
	v_fma_f32 v73, -v26, v62, v62
	v_max_f32_e32 v62, v75, v75
	v_fma_f32 v72, -v25, v72, v72
	v_fmac_f32_e32 v73, v26, v70
	v_fmac_f32_e32 v72, v25, v65
	v_max_f32_e32 v62, v62, v72
	s_and_saveexec_b32 s13, s2
	s_cbranch_execz .LBB3_59
; %bb.58:                               ;   in Loop: Header=BB3_26 Depth=1
	v_mul_f32_e32 v65, 0x4f800000, v62
	v_cmp_gt_f32_e32 vcc_lo, 0xf800000, v62
	v_cndmask_b32_e32 v65, v62, v65, vcc_lo
	v_sqrt_f32_e32 v70, v65
	v_add_nc_u32_e32 v75, -1, v70
	v_add_nc_u32_e32 v76, 1, v70
	v_fma_f32 v77, -v75, v70, v65
	v_fma_f32 v78, -v76, v70, v65
	v_cmp_ge_f32_e64 s5, 0, v77
	v_cndmask_b32_e64 v70, v70, v75, s5
	v_cmp_lt_f32_e64 s5, 0, v78
	v_cndmask_b32_e64 v70, v70, v76, s5
	v_mul_f32_e32 v75, 0x37800000, v70
	v_cndmask_b32_e32 v70, v70, v75, vcc_lo
	v_cmp_class_f32_e64 vcc_lo, v65, 0x260
	v_cndmask_b32_e32 v65, v70, v65, vcc_lo
	v_div_scale_f32 v70, null, v29, v29, v65
	v_div_scale_f32 v77, vcc_lo, v65, v29, v65
	v_rcp_f32_e32 v75, v70
	v_fma_f32 v76, -v70, v75, 1.0
	v_fmac_f32_e32 v75, v76, v75
	v_mul_f32_e32 v76, v77, v75
	v_fma_f32 v78, -v70, v76, v77
	v_fmac_f32_e32 v76, v78, v75
	v_fma_f32 v70, -v70, v76, v77
	v_div_fmas_f32 v70, v70, v75, v76
	v_div_fixup_f32 v65, v70, v29, v65
	v_mul_f32_e32 v70, v11, v73
	v_add_f32_e32 v65, v65, v28
	v_div_scale_f32 v75, null, v65, v65, v70
	v_div_scale_f32 v78, vcc_lo, v70, v65, v70
	v_rcp_f32_e32 v76, v75
	v_fma_f32 v77, -v75, v76, 1.0
	v_fmac_f32_e32 v76, v77, v76
	v_mul_f32_e32 v77, v78, v76
	v_fma_f32 v79, -v75, v77, v78
	v_fmac_f32_e32 v77, v79, v76
	v_fma_f32 v75, -v75, v77, v78
	v_div_fmas_f32 v75, v75, v76, v77
	v_div_fixup_f32 v65, v75, v65, v70
	v_add_co_u32 v75, vcc_lo, v44, s6
	v_add_co_ci_u32_e64 v76, null, s7, v45, vcc_lo
	v_sub_f32_e32 v61, v61, v65
	v_cvt_f16_f32_e32 v61, v61
	global_store_short v[75:76], v61, off
.LBB3_59:                               ;   in Loop: Header=BB3_26 Depth=1
	s_or_b32 exec_lo, exec_lo, s13
	v_cndmask_b32_e64 v61, v56, -v56, s33
	v_fma_f32 v65, v60, v27, v61
	v_cndmask_b32_e64 v61, v61, v65, s0
	v_mul_f32_e32 v65, v61, v61
	v_fma_f32 v70, -v26, v61, v61
	v_max_f32_e32 v61, v66, v66
	v_fma_f32 v65, -v25, v65, v65
	v_fmac_f32_e32 v70, v26, v68
	v_fmac_f32_e32 v65, v25, v71
	v_max_f32_e32 v61, v61, v65
	s_and_saveexec_b32 s13, s3
	s_cbranch_execz .LBB3_61
; %bb.60:                               ;   in Loop: Header=BB3_26 Depth=1
	v_mul_f32_e32 v66, 0x4f800000, v61
	v_cmp_gt_f32_e32 vcc_lo, 0xf800000, v61
	v_cndmask_b32_e32 v66, v61, v66, vcc_lo
	v_sqrt_f32_e32 v68, v66
	v_add_nc_u32_e32 v71, -1, v68
	v_add_nc_u32_e32 v75, 1, v68
	v_fma_f32 v76, -v71, v68, v66
	v_fma_f32 v77, -v75, v68, v66
	v_cmp_ge_f32_e64 s5, 0, v76
	v_cndmask_b32_e64 v68, v68, v71, s5
	v_cmp_lt_f32_e64 s5, 0, v77
	v_cndmask_b32_e64 v68, v68, v75, s5
	v_mul_f32_e32 v71, 0x37800000, v68
	v_cndmask_b32_e32 v68, v68, v71, vcc_lo
	v_cmp_class_f32_e64 vcc_lo, v66, 0x260
	v_cndmask_b32_e32 v66, v68, v66, vcc_lo
	v_div_scale_f32 v68, null, v29, v29, v66
	v_div_scale_f32 v76, vcc_lo, v66, v29, v66
	v_rcp_f32_e32 v71, v68
	v_fma_f32 v75, -v68, v71, 1.0
	v_fmac_f32_e32 v71, v75, v71
	v_mul_f32_e32 v75, v76, v71
	v_fma_f32 v77, -v68, v75, v76
	v_fmac_f32_e32 v75, v77, v71
	v_fma_f32 v68, -v68, v75, v76
	v_div_fmas_f32 v68, v68, v71, v75
	v_div_fixup_f32 v66, v68, v29, v66
	v_mul_f32_e32 v68, v11, v70
	v_add_f32_e32 v66, v66, v28
	v_div_scale_f32 v71, null, v66, v66, v68
	v_div_scale_f32 v77, vcc_lo, v68, v66, v68
	v_rcp_f32_e32 v75, v71
	v_fma_f32 v76, -v71, v75, 1.0
	v_fmac_f32_e32 v75, v76, v75
	v_mul_f32_e32 v76, v77, v75
	v_fma_f32 v78, -v71, v76, v77
	v_fmac_f32_e32 v76, v78, v75
	v_fma_f32 v71, -v71, v76, v77
	v_div_fmas_f32 v71, v71, v75, v76
	v_add_co_u32 v75, vcc_lo, v30, s6
	v_add_co_ci_u32_e64 v76, null, s7, v31, vcc_lo
	v_div_fixup_f32 v66, v71, v66, v68
	v_sub_f32_e32 v60, v60, v66
	v_cvt_f16_f32_e32 v60, v60
	global_store_short v[75:76], v60, off
.LBB3_61:                               ;   in Loop: Header=BB3_26 Depth=1
	s_or_b32 exec_lo, exec_lo, s13
	v_cndmask_b32_e64 v60, v57, -v57, s33
	v_fma_f32 v66, v59, v27, v60
	v_cndmask_b32_e64 v60, v60, v66, s0
	v_mul_f32_e32 v66, v60, v60
	v_fma_f32 v68, -v26, v60, v60
	v_max_f32_e32 v60, v74, v74
	v_fma_f32 v66, -v25, v66, v66
	v_fmac_f32_e32 v68, v26, v67
	v_fmac_f32_e32 v66, v25, v64
	v_max_f32_e32 v60, v60, v66
	s_and_saveexec_b32 s13, s4
	s_cbranch_execz .LBB3_63
; %bb.62:                               ;   in Loop: Header=BB3_26 Depth=1
	v_mul_f32_e32 v64, 0x4f800000, v60
	v_cmp_gt_f32_e32 vcc_lo, 0xf800000, v60
	v_cndmask_b32_e32 v64, v60, v64, vcc_lo
	v_sqrt_f32_e32 v67, v64
	v_add_nc_u32_e32 v71, -1, v67
	v_add_nc_u32_e32 v74, 1, v67
	v_fma_f32 v75, -v71, v67, v64
	v_fma_f32 v76, -v74, v67, v64
	v_cmp_ge_f32_e64 s5, 0, v75
	v_cndmask_b32_e64 v67, v67, v71, s5
	v_cmp_lt_f32_e64 s5, 0, v76
	v_cndmask_b32_e64 v67, v67, v74, s5
	v_mul_f32_e32 v71, 0x37800000, v67
	v_cndmask_b32_e32 v67, v67, v71, vcc_lo
	v_cmp_class_f32_e64 vcc_lo, v64, 0x260
	v_cndmask_b32_e32 v64, v67, v64, vcc_lo
	v_div_scale_f32 v67, null, v29, v29, v64
	v_div_scale_f32 v75, vcc_lo, v64, v29, v64
	v_rcp_f32_e32 v71, v67
	v_fma_f32 v74, -v67, v71, 1.0
	v_fmac_f32_e32 v71, v74, v71
	v_mul_f32_e32 v74, v75, v71
	v_fma_f32 v76, -v67, v74, v75
	v_fmac_f32_e32 v74, v76, v71
	v_fma_f32 v67, -v67, v74, v75
	v_div_fmas_f32 v67, v67, v71, v74
	v_div_fixup_f32 v64, v67, v29, v64
	v_mul_f32_e32 v67, v11, v68
	v_add_f32_e32 v64, v64, v28
	v_div_scale_f32 v71, null, v64, v64, v67
	v_div_scale_f32 v76, vcc_lo, v67, v64, v67
	v_rcp_f32_e32 v74, v71
	v_fma_f32 v75, -v71, v74, 1.0
	v_fmac_f32_e32 v74, v75, v74
	v_mul_f32_e32 v75, v76, v74
	v_fma_f32 v77, -v71, v75, v76
	v_fmac_f32_e32 v75, v77, v74
	v_fma_f32 v71, -v71, v75, v76
	v_div_fmas_f32 v71, v71, v74, v75
	v_add_co_u32 v74, vcc_lo, v14, s6
	v_add_co_ci_u32_e64 v75, null, s7, v15, vcc_lo
	v_div_fixup_f32 v64, v71, v64, v67
	v_sub_f32_e32 v59, v59, v64
	v_cvt_f16_f32_e32 v59, v59
	global_store_short v[74:75], v59, off
.LBB3_63:                               ;   in Loop: Header=BB3_26 Depth=1
	s_or_b32 exec_lo, exec_lo, s13
	s_andn2_b32 vcc_lo, exec_lo, s20
	s_cbranch_vccnz .LBB3_70
; %bb.64:                               ;   in Loop: Header=BB3_26 Depth=1
	s_and_saveexec_b32 s5, s1
	s_cbranch_execnz .LBB3_97
; %bb.65:                               ;   in Loop: Header=BB3_26 Depth=1
	s_or_b32 exec_lo, exec_lo, s5
	s_and_saveexec_b32 s5, s2
	s_cbranch_execnz .LBB3_98
.LBB3_66:                               ;   in Loop: Header=BB3_26 Depth=1
	s_or_b32 exec_lo, exec_lo, s5
	s_and_saveexec_b32 s5, s3
	s_cbranch_execnz .LBB3_99
.LBB3_67:                               ;   in Loop: Header=BB3_26 Depth=1
	s_or_b32 exec_lo, exec_lo, s5
	s_and_saveexec_b32 s5, s4
	s_cbranch_execz .LBB3_69
.LBB3_68:                               ;   in Loop: Header=BB3_26 Depth=1
	v_add_co_u32 v54, vcc_lo, v16, s6
	v_cvt_f16_f32_e32 v56, v57
	v_add_co_ci_u32_e64 v55, null, s7, v17, vcc_lo
	global_store_short v[54:55], v56, off
.LBB3_69:                               ;   in Loop: Header=BB3_26 Depth=1
	s_or_b32 exec_lo, exec_lo, s5
.LBB3_70:                               ;   in Loop: Header=BB3_26 Depth=1
	s_and_saveexec_b32 s5, s1
	s_cbranch_execnz .LBB3_85
; %bb.71:                               ;   in Loop: Header=BB3_26 Depth=1
	s_or_b32 exec_lo, exec_lo, s5
	s_and_saveexec_b32 s5, s2
	s_cbranch_execnz .LBB3_86
.LBB3_72:                               ;   in Loop: Header=BB3_26 Depth=1
	s_or_b32 exec_lo, exec_lo, s5
	s_and_saveexec_b32 s5, s3
	s_cbranch_execnz .LBB3_87
.LBB3_73:                               ;   in Loop: Header=BB3_26 Depth=1
	s_or_b32 exec_lo, exec_lo, s5
	s_and_saveexec_b32 s5, s4
	s_cbranch_execnz .LBB3_88
.LBB3_74:                               ;   in Loop: Header=BB3_26 Depth=1
	s_or_b32 exec_lo, exec_lo, s5
	s_and_saveexec_b32 s5, s1
	s_cbranch_execnz .LBB3_89
.LBB3_75:                               ;   in Loop: Header=BB3_26 Depth=1
	s_or_b32 exec_lo, exec_lo, s5
	s_and_saveexec_b32 s5, s2
	s_cbranch_execnz .LBB3_90
.LBB3_76:                               ;   in Loop: Header=BB3_26 Depth=1
	s_or_b32 exec_lo, exec_lo, s5
	s_and_saveexec_b32 s5, s3
	s_cbranch_execnz .LBB3_91
.LBB3_77:                               ;   in Loop: Header=BB3_26 Depth=1
	s_or_b32 exec_lo, exec_lo, s5
	s_and_saveexec_b32 s5, s4
	s_cbranch_execnz .LBB3_92
.LBB3_78:                               ;   in Loop: Header=BB3_26 Depth=1
	s_or_b32 exec_lo, exec_lo, s5
	s_and_saveexec_b32 s5, s1
	s_cbranch_execnz .LBB3_93
.LBB3_79:                               ;   in Loop: Header=BB3_26 Depth=1
	s_or_b32 exec_lo, exec_lo, s5
	s_and_saveexec_b32 s1, s2
	s_cbranch_execnz .LBB3_94
.LBB3_80:                               ;   in Loop: Header=BB3_26 Depth=1
	s_or_b32 exec_lo, exec_lo, s1
	s_and_saveexec_b32 s1, s3
	s_cbranch_execnz .LBB3_95
.LBB3_81:                               ;   in Loop: Header=BB3_26 Depth=1
	s_or_b32 exec_lo, exec_lo, s1
	s_and_saveexec_b32 s1, s4
	s_cbranch_execz .LBB3_25
	s_branch .LBB3_96
.LBB3_82:                               ;   in Loop: Header=BB3_26 Depth=1
	v_add_co_u32 v76, vcc_lo, v14, s6
	v_add_co_ci_u32_e64 v77, null, s7, v15, vcc_lo
	v_add_co_u32 v78, vcc_lo, v16, s6
	v_add_co_ci_u32_e64 v79, null, s7, v17, vcc_lo
	global_load_ushort v57, v[76:77], off
	global_load_ushort v63, v[78:79], off
	s_waitcnt vmcnt(1)
	v_cvt_f32_f16_e32 v59, v57
	s_waitcnt vmcnt(0)
	v_cvt_f32_f16_e32 v57, v63
	s_or_b32 exec_lo, exec_lo, s5
	v_mov_b32_e32 v67, 0
	s_and_saveexec_b32 s5, s4
	s_cbranch_execz .LBB3_46
.LBB3_83:                               ;   in Loop: Header=BB3_26 Depth=1
	v_add_co_u32 v63, vcc_lo, v18, s6
	v_add_co_ci_u32_e64 v64, null, s7, v19, vcc_lo
	v_add_co_u32 v76, vcc_lo, v20, s6
	v_add_co_ci_u32_e64 v77, null, s7, v21, vcc_lo
	global_load_ushort v63, v[63:64], off
	global_load_ushort v64, v[76:77], off
	s_waitcnt vmcnt(1)
	v_cvt_f32_f16_e32 v67, v63
	s_waitcnt vmcnt(0)
	v_cvt_f32_f16_e32 v64, v64
	s_or_b32 exec_lo, exec_lo, s5
	v_mov_b32_e32 v74, 0
	s_and_saveexec_b32 s5, s4
	s_cbranch_execz .LBB3_47
.LBB3_84:                               ;   in Loop: Header=BB3_26 Depth=1
	v_add_co_u32 v76, vcc_lo, v22, s6
	v_add_co_ci_u32_e64 v77, null, s7, v23, vcc_lo
	global_load_ushort v63, v[76:77], off
	s_waitcnt vmcnt(0)
	v_cvt_f32_f16_e32 v74, v63
	s_or_b32 exec_lo, exec_lo, s5
	s_andn2_b32 vcc_lo, exec_lo, s20
	s_cbranch_vccz .LBB3_48
	s_branch .LBB3_49
.LBB3_85:                               ;   in Loop: Header=BB3_26 Depth=1
	v_add_co_u32 v54, vcc_lo, v7, s6
	v_cvt_f16_f32_e32 v56, v69
	v_add_co_ci_u32_e64 v55, null, s7, v8, vcc_lo
	global_store_short v[54:55], v56, off
	s_or_b32 exec_lo, exec_lo, s5
	s_and_saveexec_b32 s5, s2
	s_cbranch_execz .LBB3_72
.LBB3_86:                               ;   in Loop: Header=BB3_26 Depth=1
	v_add_co_u32 v54, vcc_lo, v48, s6
	v_cvt_f16_f32_e32 v56, v73
	v_add_co_ci_u32_e64 v55, null, s7, v49, vcc_lo
	global_store_short v[54:55], v56, off
	s_or_b32 exec_lo, exec_lo, s5
	s_and_saveexec_b32 s5, s3
	s_cbranch_execz .LBB3_73
.LBB3_87:                               ;   in Loop: Header=BB3_26 Depth=1
	v_add_co_u32 v54, vcc_lo, v34, s6
	v_cvt_f16_f32_e32 v56, v70
	v_add_co_ci_u32_e64 v55, null, s7, v35, vcc_lo
	global_store_short v[54:55], v56, off
	s_or_b32 exec_lo, exec_lo, s5
	s_and_saveexec_b32 s5, s4
	s_cbranch_execz .LBB3_74
.LBB3_88:                               ;   in Loop: Header=BB3_26 Depth=1
	v_add_co_u32 v54, vcc_lo, v18, s6
	v_cvt_f16_f32_e32 v56, v68
	v_add_co_ci_u32_e64 v55, null, s7, v19, vcc_lo
	global_store_short v[54:55], v56, off
	s_or_b32 exec_lo, exec_lo, s5
	s_and_saveexec_b32 s5, s1
	s_cbranch_execz .LBB3_75
.LBB3_89:                               ;   in Loop: Header=BB3_26 Depth=1
	v_add_co_u32 v54, vcc_lo, v9, s6
	v_cvt_f16_f32_e32 v56, v63
	v_add_co_ci_u32_e64 v55, null, s7, v10, vcc_lo
	global_store_short v[54:55], v56, off
	s_or_b32 exec_lo, exec_lo, s5
	s_and_saveexec_b32 s5, s2
	s_cbranch_execz .LBB3_76
.LBB3_90:                               ;   in Loop: Header=BB3_26 Depth=1
	v_add_co_u32 v54, vcc_lo, v50, s6
	v_cvt_f16_f32_e32 v56, v72
	v_add_co_ci_u32_e64 v55, null, s7, v51, vcc_lo
	global_store_short v[54:55], v56, off
	s_or_b32 exec_lo, exec_lo, s5
	s_and_saveexec_b32 s5, s3
	s_cbranch_execz .LBB3_77
.LBB3_91:                               ;   in Loop: Header=BB3_26 Depth=1
	v_add_co_u32 v54, vcc_lo, v36, s6
	v_cvt_f16_f32_e32 v56, v65
	v_add_co_ci_u32_e64 v55, null, s7, v37, vcc_lo
	global_store_short v[54:55], v56, off
	s_or_b32 exec_lo, exec_lo, s5
	s_and_saveexec_b32 s5, s4
	s_cbranch_execz .LBB3_78
.LBB3_92:                               ;   in Loop: Header=BB3_26 Depth=1
	v_add_co_u32 v54, vcc_lo, v20, s6
	v_cvt_f16_f32_e32 v56, v66
	v_add_co_ci_u32_e64 v55, null, s7, v21, vcc_lo
	global_store_short v[54:55], v56, off
	s_or_b32 exec_lo, exec_lo, s5
	s_and_saveexec_b32 s5, s1
	s_cbranch_execz .LBB3_79
.LBB3_93:                               ;   in Loop: Header=BB3_26 Depth=1
	v_add_co_u32 v54, vcc_lo, v12, s6
	v_cvt_f16_f32_e32 v56, v58
	v_add_co_ci_u32_e64 v55, null, s7, v13, vcc_lo
	global_store_short v[54:55], v56, off
	s_or_b32 exec_lo, exec_lo, s5
	s_and_saveexec_b32 s1, s2
	s_cbranch_execz .LBB3_80
.LBB3_94:                               ;   in Loop: Header=BB3_26 Depth=1
	v_add_co_u32 v54, vcc_lo, v52, s6
	v_cvt_f16_f32_e32 v56, v62
	v_add_co_ci_u32_e64 v55, null, s7, v53, vcc_lo
	global_store_short v[54:55], v56, off
	s_or_b32 exec_lo, exec_lo, s1
	s_and_saveexec_b32 s1, s3
	s_cbranch_execz .LBB3_81
.LBB3_95:                               ;   in Loop: Header=BB3_26 Depth=1
	v_add_co_u32 v54, vcc_lo, v39, s6
	v_cvt_f16_f32_e32 v56, v61
	v_add_co_ci_u32_e64 v55, null, s7, v40, vcc_lo
	global_store_short v[54:55], v56, off
	s_or_b32 exec_lo, exec_lo, s1
	s_and_saveexec_b32 s1, s4
	s_cbranch_execz .LBB3_25
.LBB3_96:                               ;   in Loop: Header=BB3_26 Depth=1
	v_add_co_u32 v54, vcc_lo, v22, s6
	v_cvt_f16_f32_e32 v56, v60
	v_add_co_ci_u32_e64 v55, null, s7, v23, vcc_lo
	global_store_short v[54:55], v56, off
	s_branch .LBB3_25
.LBB3_97:                               ;   in Loop: Header=BB3_26 Depth=1
	v_add_co_u32 v74, vcc_lo, v5, s6
	v_cvt_f16_f32_e32 v54, v54
	v_add_co_ci_u32_e64 v75, null, s7, v6, vcc_lo
	global_store_short v[74:75], v54, off
	s_or_b32 exec_lo, exec_lo, s5
	s_and_saveexec_b32 s5, s2
	s_cbranch_execz .LBB3_66
.LBB3_98:                               ;   in Loop: Header=BB3_26 Depth=1
	v_add_co_u32 v54, vcc_lo, v46, s6
	v_cvt_f16_f32_e32 v59, v55
	v_add_co_ci_u32_e64 v55, null, s7, v47, vcc_lo
	global_store_short v[54:55], v59, off
	s_or_b32 exec_lo, exec_lo, s5
	s_and_saveexec_b32 s5, s3
	s_cbranch_execz .LBB3_67
.LBB3_99:                               ;   in Loop: Header=BB3_26 Depth=1
	v_add_co_u32 v54, vcc_lo, v32, s6
	v_cvt_f16_f32_e32 v56, v56
	v_add_co_ci_u32_e64 v55, null, s7, v33, vcc_lo
	global_store_short v[54:55], v56, off
	s_or_b32 exec_lo, exec_lo, s5
	s_and_saveexec_b32 s5, s4
	s_cbranch_execnz .LBB3_68
	s_branch .LBB3_69
.LBB3_100:
	s_endpgm
	.section	.rodata,"a",@progbits
	.p2align	6, 0x0
	.amdhsa_kernel _ZN2at6native12_GLOBAL__N_125multi_tensor_apply_kernelINS1_32FusedOptimizerTensorListMetadataILi5EEENS1_20FusedAdamMathFunctorIN3c104HalfELi5ELNS0_9ADAM_MODEE0ELb1EEEJPKfdddddbSB_SB_EEEvT_T0_DpT1_
		.amdhsa_group_segment_fixed_size 0
		.amdhsa_private_segment_fixed_size 0
		.amdhsa_kernarg_size 3624
		.amdhsa_user_sgpr_count 6
		.amdhsa_user_sgpr_private_segment_buffer 1
		.amdhsa_user_sgpr_dispatch_ptr 0
		.amdhsa_user_sgpr_queue_ptr 0
		.amdhsa_user_sgpr_kernarg_segment_ptr 1
		.amdhsa_user_sgpr_dispatch_id 0
		.amdhsa_user_sgpr_flat_scratch_init 0
		.amdhsa_user_sgpr_private_segment_size 0
		.amdhsa_wavefront_size32 1
		.amdhsa_uses_dynamic_stack 0
		.amdhsa_system_sgpr_private_segment_wavefront_offset 0
		.amdhsa_system_sgpr_workgroup_id_x 1
		.amdhsa_system_sgpr_workgroup_id_y 0
		.amdhsa_system_sgpr_workgroup_id_z 0
		.amdhsa_system_sgpr_workgroup_info 0
		.amdhsa_system_vgpr_workitem_id 0
		.amdhsa_next_free_vgpr 81
		.amdhsa_next_free_sgpr 40
		.amdhsa_reserve_vcc 1
		.amdhsa_reserve_flat_scratch 0
		.amdhsa_float_round_mode_32 0
		.amdhsa_float_round_mode_16_64 0
		.amdhsa_float_denorm_mode_32 3
		.amdhsa_float_denorm_mode_16_64 3
		.amdhsa_dx10_clamp 1
		.amdhsa_ieee_mode 1
		.amdhsa_fp16_overflow 0
		.amdhsa_workgroup_processor_mode 1
		.amdhsa_memory_ordered 1
		.amdhsa_forward_progress 1
		.amdhsa_shared_vgpr_count 0
		.amdhsa_exception_fp_ieee_invalid_op 0
		.amdhsa_exception_fp_denorm_src 0
		.amdhsa_exception_fp_ieee_div_zero 0
		.amdhsa_exception_fp_ieee_overflow 0
		.amdhsa_exception_fp_ieee_underflow 0
		.amdhsa_exception_fp_ieee_inexact 0
		.amdhsa_exception_int_div_zero 0
	.end_amdhsa_kernel
	.section	.text._ZN2at6native12_GLOBAL__N_125multi_tensor_apply_kernelINS1_32FusedOptimizerTensorListMetadataILi5EEENS1_20FusedAdamMathFunctorIN3c104HalfELi5ELNS0_9ADAM_MODEE0ELb1EEEJPKfdddddbSB_SB_EEEvT_T0_DpT1_,"axG",@progbits,_ZN2at6native12_GLOBAL__N_125multi_tensor_apply_kernelINS1_32FusedOptimizerTensorListMetadataILi5EEENS1_20FusedAdamMathFunctorIN3c104HalfELi5ELNS0_9ADAM_MODEE0ELb1EEEJPKfdddddbSB_SB_EEEvT_T0_DpT1_,comdat
.Lfunc_end3:
	.size	_ZN2at6native12_GLOBAL__N_125multi_tensor_apply_kernelINS1_32FusedOptimizerTensorListMetadataILi5EEENS1_20FusedAdamMathFunctorIN3c104HalfELi5ELNS0_9ADAM_MODEE0ELb1EEEJPKfdddddbSB_SB_EEEvT_T0_DpT1_, .Lfunc_end3-_ZN2at6native12_GLOBAL__N_125multi_tensor_apply_kernelINS1_32FusedOptimizerTensorListMetadataILi5EEENS1_20FusedAdamMathFunctorIN3c104HalfELi5ELNS0_9ADAM_MODEE0ELb1EEEJPKfdddddbSB_SB_EEEvT_T0_DpT1_
                                        ; -- End function
	.set _ZN2at6native12_GLOBAL__N_125multi_tensor_apply_kernelINS1_32FusedOptimizerTensorListMetadataILi5EEENS1_20FusedAdamMathFunctorIN3c104HalfELi5ELNS0_9ADAM_MODEE0ELb1EEEJPKfdddddbSB_SB_EEEvT_T0_DpT1_.num_vgpr, 81
	.set _ZN2at6native12_GLOBAL__N_125multi_tensor_apply_kernelINS1_32FusedOptimizerTensorListMetadataILi5EEENS1_20FusedAdamMathFunctorIN3c104HalfELi5ELNS0_9ADAM_MODEE0ELb1EEEJPKfdddddbSB_SB_EEEvT_T0_DpT1_.num_agpr, 0
	.set _ZN2at6native12_GLOBAL__N_125multi_tensor_apply_kernelINS1_32FusedOptimizerTensorListMetadataILi5EEENS1_20FusedAdamMathFunctorIN3c104HalfELi5ELNS0_9ADAM_MODEE0ELb1EEEJPKfdddddbSB_SB_EEEvT_T0_DpT1_.numbered_sgpr, 40
	.set _ZN2at6native12_GLOBAL__N_125multi_tensor_apply_kernelINS1_32FusedOptimizerTensorListMetadataILi5EEENS1_20FusedAdamMathFunctorIN3c104HalfELi5ELNS0_9ADAM_MODEE0ELb1EEEJPKfdddddbSB_SB_EEEvT_T0_DpT1_.num_named_barrier, 0
	.set _ZN2at6native12_GLOBAL__N_125multi_tensor_apply_kernelINS1_32FusedOptimizerTensorListMetadataILi5EEENS1_20FusedAdamMathFunctorIN3c104HalfELi5ELNS0_9ADAM_MODEE0ELb1EEEJPKfdddddbSB_SB_EEEvT_T0_DpT1_.private_seg_size, 0
	.set _ZN2at6native12_GLOBAL__N_125multi_tensor_apply_kernelINS1_32FusedOptimizerTensorListMetadataILi5EEENS1_20FusedAdamMathFunctorIN3c104HalfELi5ELNS0_9ADAM_MODEE0ELb1EEEJPKfdddddbSB_SB_EEEvT_T0_DpT1_.uses_vcc, 1
	.set _ZN2at6native12_GLOBAL__N_125multi_tensor_apply_kernelINS1_32FusedOptimizerTensorListMetadataILi5EEENS1_20FusedAdamMathFunctorIN3c104HalfELi5ELNS0_9ADAM_MODEE0ELb1EEEJPKfdddddbSB_SB_EEEvT_T0_DpT1_.uses_flat_scratch, 0
	.set _ZN2at6native12_GLOBAL__N_125multi_tensor_apply_kernelINS1_32FusedOptimizerTensorListMetadataILi5EEENS1_20FusedAdamMathFunctorIN3c104HalfELi5ELNS0_9ADAM_MODEE0ELb1EEEJPKfdddddbSB_SB_EEEvT_T0_DpT1_.has_dyn_sized_stack, 0
	.set _ZN2at6native12_GLOBAL__N_125multi_tensor_apply_kernelINS1_32FusedOptimizerTensorListMetadataILi5EEENS1_20FusedAdamMathFunctorIN3c104HalfELi5ELNS0_9ADAM_MODEE0ELb1EEEJPKfdddddbSB_SB_EEEvT_T0_DpT1_.has_recursion, 0
	.set _ZN2at6native12_GLOBAL__N_125multi_tensor_apply_kernelINS1_32FusedOptimizerTensorListMetadataILi5EEENS1_20FusedAdamMathFunctorIN3c104HalfELi5ELNS0_9ADAM_MODEE0ELb1EEEJPKfdddddbSB_SB_EEEvT_T0_DpT1_.has_indirect_call, 0
	.section	.AMDGPU.csdata,"",@progbits
; Kernel info:
; codeLenInByte = 9516
; TotalNumSgprs: 42
; NumVgprs: 81
; ScratchSize: 0
; MemoryBound: 0
; FloatMode: 240
; IeeeMode: 1
; LDSByteSize: 0 bytes/workgroup (compile time only)
; SGPRBlocks: 0
; VGPRBlocks: 10
; NumSGPRsForWavesPerEU: 42
; NumVGPRsForWavesPerEU: 81
; Occupancy: 10
; WaveLimiterHint : 0
; COMPUTE_PGM_RSRC2:SCRATCH_EN: 0
; COMPUTE_PGM_RSRC2:USER_SGPR: 6
; COMPUTE_PGM_RSRC2:TRAP_HANDLER: 0
; COMPUTE_PGM_RSRC2:TGID_X_EN: 1
; COMPUTE_PGM_RSRC2:TGID_Y_EN: 0
; COMPUTE_PGM_RSRC2:TGID_Z_EN: 0
; COMPUTE_PGM_RSRC2:TIDIG_COMP_CNT: 0
	.section	.text._ZN2at6native12_GLOBAL__N_125multi_tensor_apply_kernelINS1_32FusedOptimizerTensorListMetadataILi5EEENS1_20FusedAdamMathFunctorIN3c108BFloat16ELi5ELNS0_9ADAM_MODEE0ELb1EEEJPKfdddddbSB_SB_EEEvT_T0_DpT1_,"axG",@progbits,_ZN2at6native12_GLOBAL__N_125multi_tensor_apply_kernelINS1_32FusedOptimizerTensorListMetadataILi5EEENS1_20FusedAdamMathFunctorIN3c108BFloat16ELi5ELNS0_9ADAM_MODEE0ELb1EEEJPKfdddddbSB_SB_EEEvT_T0_DpT1_,comdat
	.globl	_ZN2at6native12_GLOBAL__N_125multi_tensor_apply_kernelINS1_32FusedOptimizerTensorListMetadataILi5EEENS1_20FusedAdamMathFunctorIN3c108BFloat16ELi5ELNS0_9ADAM_MODEE0ELb1EEEJPKfdddddbSB_SB_EEEvT_T0_DpT1_ ; -- Begin function _ZN2at6native12_GLOBAL__N_125multi_tensor_apply_kernelINS1_32FusedOptimizerTensorListMetadataILi5EEENS1_20FusedAdamMathFunctorIN3c108BFloat16ELi5ELNS0_9ADAM_MODEE0ELb1EEEJPKfdddddbSB_SB_EEEvT_T0_DpT1_
	.p2align	8
	.type	_ZN2at6native12_GLOBAL__N_125multi_tensor_apply_kernelINS1_32FusedOptimizerTensorListMetadataILi5EEENS1_20FusedAdamMathFunctorIN3c108BFloat16ELi5ELNS0_9ADAM_MODEE0ELb1EEEJPKfdddddbSB_SB_EEEvT_T0_DpT1_,@function
_ZN2at6native12_GLOBAL__N_125multi_tensor_apply_kernelINS1_32FusedOptimizerTensorListMetadataILi5EEENS1_20FusedAdamMathFunctorIN3c108BFloat16ELi5ELNS0_9ADAM_MODEE0ELb1EEEJPKfdddddbSB_SB_EEEvT_T0_DpT1_: ; @_ZN2at6native12_GLOBAL__N_125multi_tensor_apply_kernelINS1_32FusedOptimizerTensorListMetadataILi5EEENS1_20FusedAdamMathFunctorIN3c108BFloat16ELi5ELNS0_9ADAM_MODEE0ELb1EEEJPKfdddddbSB_SB_EEEvT_T0_DpT1_
; %bb.0:
	v_mov_b32_e32 v1, s6
	s_add_u32 s1, s4, s6
	s_mul_hi_u32 s3, s6, 3
	s_mul_i32 s6, s6, 3
	s_addc_u32 s7, s5, 0
	global_load_ubyte v1, v1, s[4:5] offset:1680
	s_clause 0x1
	s_load_dwordx8 s[8:15], s[4:5], 0xce0
	s_load_dwordx4 s[20:23], s[4:5], 0xd00
	s_add_u32 s2, s1, s6
	s_addc_u32 s3, s7, s3
	s_mov_b32 s1, 0
	s_waitcnt lgkmcnt(0)
	s_cmp_eq_u64 s[8:9], 0
	s_waitcnt vmcnt(0)
	v_readfirstlane_b32 s0, v1
	s_cbranch_scc1 .LBB4_28
; %bb.1:
	s_load_dword s6, s[8:9], 0x0
	s_waitcnt lgkmcnt(0)
	v_mov_b32_e32 v30, s6
	s_andn2_b32 vcc_lo, exec_lo, s1
	s_cbranch_vccnz .LBB4_3
.LBB4_2:
	v_cvt_f32_f64_e32 v30, s[10:11]
.LBB4_3:
	s_load_dwordx4 s[16:19], s[4:5], 0xd18
	s_waitcnt lgkmcnt(0)
	s_cmp_eq_u64 s[18:19], 0
	s_cselect_b32 s1, -1, 0
	s_and_b32 vcc_lo, exec_lo, s1
	s_cbranch_vccnz .LBB4_5
; %bb.4:
	s_load_dword s1, s[18:19], 0x0
	s_waitcnt lgkmcnt(0)
	v_cmp_neq_f32_e64 s1, s1, 1.0
.LBB4_5:
	s_andn2_b32 vcc_lo, exec_lo, s1
	s_cbranch_vccnz .LBB4_116
; %bb.6:
	s_load_dword s1, s[4:5], 0xd10
	v_cvt_f32_f64_e32 v25, s[14:15]
	v_cvt_f32_f64_e32 v26, s[12:13]
	;; [unrolled: 1-line block ×3, first 2 shown]
	s_waitcnt lgkmcnt(0)
	s_bitcmp1_b32 s1, 0
	s_cselect_b32 s33, -1, 0
	s_and_b32 s0, s0, 0xff
	v_cmp_neq_f32_e32 vcc_lo, 1.0, v25
	s_lshl_b32 s6, s0, 3
	s_clause 0x1
	s_load_dwordx2 s[0:1], s[4:5], s6 offset:0x5a0
	s_load_dwordx2 s[10:11], s[4:5], s6 offset:0x4b0
	s_waitcnt lgkmcnt(0)
	s_load_dword s0, s[0:1], 0x0
	s_mov_b32 s1, 0x3e76c4e1
	s_clause 0x5
	s_load_dword s28, s[2:3], 0x7d0
	s_load_dwordx2 s[12:13], s[4:5], s6 offset:0x0
	s_load_dwordx2 s[14:15], s[4:5], s6 offset:0xf0
	;; [unrolled: 1-line block ×5, first 2 shown]
	s_waitcnt lgkmcnt(0)
	v_cndmask_b32_e64 v5, 1.0, s0, vcc_lo
	s_ashr_i32 s29, s28, 31
	s_lshl_b64 s[30:31], s[28:29], 16
	v_cmp_neq_f32_e32 vcc_lo, 0, v5
	v_cmp_neq_f32_e64 s9, v5, |v5|
	v_cndmask_b32_e32 v6, 1.0, v25, vcc_lo
	v_cmp_neq_f32_e32 vcc_lo, 1.0, v26
	v_frexp_mant_f32_e64 v1, |v6|
	v_cndmask_b32_e64 v7, 1.0, s0, vcc_lo
	v_cmp_lt_f32_e64 s37, |v6|, 1.0
	v_cmp_eq_f32_e64 s6, 0, v6
	v_cmp_class_f32_e64 s38, v6, 0x204
	v_cmp_neq_f32_e32 vcc_lo, 0, v7
	s_xor_b32 s9, s9, s37
	v_cmp_neq_f32_e64 s34, v7, |v7|
	v_cndmask_b32_e32 v8, 1.0, v26, vcc_lo
	v_cmp_gt_f32_e32 vcc_lo, 0x3f2aaaab, v1
	v_frexp_mant_f32_e64 v3, |v8|
	v_cndmask_b32_e64 v2, 1.0, 2.0, vcc_lo
	v_cmp_lt_f32_e64 s35, |v8|, 1.0
	v_cmp_class_f32_e64 s36, v8, 0x204
	v_cmp_gt_f32_e64 s0, 0x3f2aaaab, v3
	v_mul_f32_e32 v1, v1, v2
	v_cndmask_b32_e64 v2, 1.0, 2.0, s0
	v_add_f32_e32 v4, 1.0, v1
	v_add_f32_e32 v10, -1.0, v1
	v_mul_f32_e32 v2, v3, v2
	v_rcp_f32_e32 v3, v4
	v_add_f32_e32 v14, -1.0, v4
	v_add_f32_e32 v9, 1.0, v2
	v_add_f32_e32 v13, -1.0, v2
	v_sub_f32_e32 v1, v1, v14
	v_rcp_f32_e32 v11, v9
	v_mul_f32_e32 v12, v10, v3
	v_add_f32_e32 v14, -1.0, v9
	v_mul_f32_e32 v15, v4, v12
	v_mul_f32_e32 v16, v13, v11
	v_fma_f32 v4, v12, v4, -v15
	v_mul_f32_e32 v17, v9, v16
	v_fmac_f32_e32 v4, v12, v1
	v_sub_f32_e32 v1, v2, v14
	v_fma_f32 v2, v16, v9, -v17
	v_add_f32_e32 v9, v15, v4
	v_fmac_f32_e32 v2, v16, v1
	v_sub_f32_e32 v1, v10, v9
	v_sub_f32_e32 v15, v9, v15
	v_add_f32_e32 v14, v17, v2
	v_sub_f32_e32 v10, v10, v1
	v_sub_f32_e32 v4, v15, v4
	;; [unrolled: 1-line block ×6, first 2 shown]
	v_add_f32_e32 v4, v4, v9
	v_sub_f32_e32 v2, v10, v2
	v_sub_f32_e32 v9, v13, v14
	v_add_f32_e32 v1, v1, v4
	v_add_f32_e32 v2, v2, v9
	v_mul_f32_e32 v1, v3, v1
	v_add_f32_e32 v2, v18, v2
	v_add_f32_e32 v9, v12, v1
	v_mul_f32_e32 v2, v11, v2
	v_sub_f32_e32 v3, v9, v12
	v_mul_f32_e32 v11, v9, v9
	v_add_f32_e32 v10, v16, v2
	v_sub_f32_e32 v12, v1, v3
	v_fma_f32 v13, v9, v9, -v11
	v_sub_f32_e32 v1, v10, v16
	v_add_f32_e32 v3, v12, v12
	v_mul_f32_e32 v14, v10, v10
	v_sub_f32_e32 v15, v2, v1
	v_fmac_f32_e32 v13, v9, v3
	v_fma_f32 v16, v10, v10, -v14
	v_add_f32_e32 v1, v15, v15
	v_add_f32_e32 v17, v11, v13
	v_fmac_f32_e32 v16, v10, v1
	v_fmaak_f32 v3, s1, v17, 0x3e91f4c4
	v_cvt_f64_f32_e64 v[1:2], |v8|
	v_sub_f32_e32 v11, v17, v11
	v_add_f32_e32 v18, v14, v16
	v_fmaak_f32 v19, v17, v3, 0x3ecccdef
	v_cvt_f64_f32_e64 v[3:4], |v6|
	v_sub_f32_e32 v11, v13, v11
	v_fmaak_f32 v20, s1, v18, 0x3e91f4c4
	v_mul_f32_e32 v21, v17, v19
	v_sub_f32_e32 v14, v18, v14
	v_mul_f32_e32 v23, v10, v18
	v_fmaak_f32 v20, v18, v20, 0x3ecccdef
	v_fma_f32 v13, v17, v19, -v21
	v_sub_f32_e32 v14, v16, v14
	v_mul_f32_e32 v22, v18, v20
	v_fmac_f32_e32 v13, v11, v19
	v_frexp_exp_i32_f64_e32 v1, v[1:2]
	v_fma_f32 v16, v18, v20, -v22
	v_add_f32_e32 v19, v21, v13
	v_frexp_exp_i32_f64_e32 v2, v[3:4]
	v_fmac_f32_e32 v16, v14, v20
	v_sub_f32_e32 v3, v19, v21
	v_add_f32_e32 v4, 0x3f2aaaaa, v19
	v_mul_f32_e32 v20, v9, v17
	v_add_f32_e32 v21, v22, v16
	v_sub_f32_e32 v3, v13, v3
	v_add_f32_e32 v13, 0xbf2aaaaa, v4
	v_fma_f32 v24, v17, v9, -v20
	v_add_f32_e32 v27, 0x3f2aaaaa, v21
	v_sub_f32_e32 v22, v21, v22
	v_add_f32_e32 v3, 0x31739010, v3
	v_sub_f32_e32 v13, v19, v13
	v_fmac_f32_e32 v24, v17, v12
	v_fma_f32 v17, v18, v10, -v23
	v_sub_f32_e32 v16, v16, v22
	v_add_f32_e32 v19, 0xbf2aaaaa, v27
	v_add_f32_e32 v3, v3, v13
	v_fmac_f32_e32 v24, v11, v9
	v_fmac_f32_e32 v17, v18, v15
	v_add_f32_e32 v11, 0x31739010, v16
	v_sub_f32_e32 v13, v21, v19
	v_add_f32_e32 v16, v4, v3
	v_add_f32_e32 v18, v20, v24
	v_fmac_f32_e32 v17, v14, v10
	v_subrev_co_ci_u32_e64 v2, null, 0, v2, vcc_lo
	v_add_f32_e32 v11, v11, v13
	v_sub_f32_e32 v4, v4, v16
	v_mul_f32_e32 v13, v18, v16
	v_sub_f32_e32 v19, v18, v20
	v_add_f32_e32 v14, v23, v17
	v_add_f32_e32 v20, v27, v11
	;; [unrolled: 1-line block ×3, first 2 shown]
	v_fma_f32 v4, v18, v16, -v13
	v_sub_f32_e32 v19, v24, v19
	v_ldexp_f32 v9, v9, 1
	v_sub_f32_e32 v21, v27, v20
	v_cvt_f32_i32_e32 v2, v2
	v_fmac_f32_e32 v4, v18, v3
	v_mul_f32_e32 v3, v14, v20
	v_sub_f32_e32 v18, v14, v23
	v_add_f32_e32 v11, v11, v21
	v_subrev_co_ci_u32_e64 v1, null, 0, v1, s0
	v_fmac_f32_e32 v4, v19, v16
	v_fma_f32 v16, v14, v20, -v3
	v_sub_f32_e32 v17, v17, v18
	v_ldexp_f32 v12, v12, 1
	v_cvt_f32_i32_e32 v1, v1
	v_add_f32_e32 v19, v13, v4
	v_fmac_f32_e32 v16, v14, v11
	v_mul_f32_e32 v11, 0x3f317218, v2
	v_ldexp_f32 v10, v10, 1
	v_cvt_f32_f64_e32 v27, s[20:21]
	v_add_f32_e32 v14, v9, v19
	v_sub_f32_e32 v13, v19, v13
	v_fmac_f32_e32 v16, v17, v20
	v_fma_f32 v18, 0x3f317218, v2, -v11
	v_mul_f32_e32 v17, 0x3f317218, v1
	v_sub_f32_e32 v9, v14, v9
	v_sub_f32_e32 v4, v4, v13
	v_add_f32_e32 v13, v3, v16
	v_fmac_f32_e32 v18, 0xb102e308, v2
	v_ldexp_f32 v2, v15, 1
	v_sub_f32_e32 v9, v19, v9
	v_add_f32_e32 v4, v12, v4
	v_add_f32_e32 v12, v10, v13
	v_sub_f32_e32 v3, v13, v3
	v_add_f32_e32 v15, v11, v18
	v_add_f32_e32 v4, v4, v9
	v_sub_f32_e32 v9, v12, v10
	v_sub_f32_e32 v3, v16, v3
	v_fma_f32 v10, 0x3f317218, v1, -v17
	v_sub_f32_e32 v11, v15, v11
	v_add_f32_e32 v16, v14, v4
	v_sub_f32_e32 v9, v13, v9
	v_add_f32_e32 v2, v2, v3
	v_fmac_f32_e32 v10, 0xb102e308, v1
	v_sub_f32_e32 v11, v18, v11
	v_add_f32_e32 v1, v15, v16
	v_sub_f32_e32 v14, v16, v14
	v_add_f32_e32 v2, v2, v9
	v_add_f32_e32 v3, v17, v10
	v_sub_f32_e32 v9, v1, v15
	v_sub_f32_e32 v4, v4, v14
	v_add_f32_e32 v13, v12, v2
	v_sub_f32_e32 v19, v1, v9
	v_sub_f32_e32 v9, v16, v9
	;; [unrolled: 3-line block ×3, first 2 shown]
	v_sub_f32_e32 v15, v3, v17
	v_sub_f32_e32 v16, v18, v3
	v_add_f32_e32 v17, v11, v4
	v_sub_f32_e32 v2, v2, v12
	v_add_f32_e32 v9, v9, v14
	v_sub_f32_e32 v10, v10, v15
	v_sub_f32_e32 v14, v18, v16
	;; [unrolled: 1-line block ×4, first 2 shown]
	v_add_f32_e32 v9, v17, v9
	v_add_f32_e32 v16, v10, v2
	v_sub_f32_e32 v3, v3, v14
	v_sub_f32_e32 v14, v17, v12
	;; [unrolled: 1-line block ×3, first 2 shown]
	v_add_f32_e32 v15, v1, v9
	v_sub_f32_e32 v12, v16, v10
	v_add_f32_e32 v3, v13, v3
	v_sub_f32_e32 v11, v11, v14
	v_trunc_f32_e32 v14, v5
	v_sub_f32_e32 v1, v15, v1
	v_sub_f32_e32 v2, v2, v12
	v_add_f32_e32 v3, v16, v3
	v_add_f32_e32 v4, v4, v11
	v_cmp_eq_f32_e64 s3, v14, v5
	v_sub_f32_e32 v1, v9, v1
	v_sub_f32_e32 v9, v16, v12
	v_add_f32_e32 v11, v18, v3
	v_mul_f32_e32 v12, 0.5, v7
	v_add_f32_e32 v1, v4, v1
	v_sub_f32_e32 v4, v10, v9
	v_sub_f32_e32 v9, v11, v18
	v_trunc_f32_e32 v18, v12
	v_add_f32_e32 v10, v15, v1
	v_add_f32_e32 v2, v2, v4
	v_sub_f32_e32 v3, v3, v9
	v_cmp_neq_f32_e64 s7, v18, v12
	v_sub_f32_e32 v4, v10, v15
	v_mul_f32_e32 v9, v5, v10
	v_add_f32_e32 v2, v2, v3
	v_sub_f32_e32 v1, v1, v4
	v_fma_f32 v3, v5, v10, -v9
	v_add_f32_e32 v4, v11, v2
	v_cmp_class_f32_e64 vcc_lo, v9, 0x204
	v_fmac_f32_e32 v3, v5, v1
	v_sub_f32_e32 v10, v4, v11
	v_mul_f32_e32 v11, v7, v4
	v_trunc_f32_e32 v1, v7
	v_add_f32_e32 v13, v9, v3
	v_sub_f32_e32 v2, v2, v10
	v_fma_f32 v4, v7, v4, -v11
	v_cmp_class_f32_e64 s2, v11, 0x204
	v_cmp_eq_f32_e64 s1, v1, v7
	v_cndmask_b32_e32 v10, v13, v9, vcc_lo
	v_sub_f32_e32 v9, v13, v9
	v_fmac_f32_e32 v4, v7, v2
	v_mul_f32_e32 v2, 0.5, v5
	v_cmp_gt_f32_e32 vcc_lo, 0, v7
	v_cmp_eq_f32_e64 s0, 0x42b17218, v10
	v_sub_f32_e32 v3, v3, v9
	v_add_f32_e32 v16, v11, v4
	v_trunc_f32_e32 v23, v2
	v_cndmask_b32_e64 v15, 0, 0x37000000, s0
	v_cmp_gt_f32_e64 s0, 0, v5
	v_cndmask_b32_e64 v17, v16, v11, s2
	v_cmp_neq_f32_e64 s8, v23, v2
	v_sub_f32_e32 v11, v16, v11
	v_sub_f32_e32 v1, v10, v15
	s_xor_b32 s0, s0, s6
	v_cmp_eq_f32_e64 s2, 0x42b17218, v17
	s_and_b32 s8, s3, s8
	v_sub_f32_e32 v4, v4, v11
	v_mul_f32_e32 v19, 0x3fb8aa3b, v1
	v_cndmask_b32_e64 v20, 0, 0x37000000, s2
	v_cmp_eq_f32_e64 s2, 0, v8
	v_fma_f32 v21, 0x3fb8aa3b, v1, -v19
	v_rndne_f32_e32 v22, v19
	v_sub_f32_e32 v14, v17, v20
	v_fmac_f32_e32 v21, 0x32a5705f, v1
	v_sub_f32_e32 v19, v19, v22
	v_mul_f32_e32 v24, 0x3fb8aa3b, v14
	v_add_f32_e32 v19, v19, v21
	v_fma_f32 v12, 0x3fb8aa3b, v14, -v24
	v_rndne_f32_e32 v18, v24
	v_cndmask_b32_e64 v21, 0x7f800000, 0, s9
	v_cmp_neq_f32_e64 s9, 0x7f800000, |v10|
	v_exp_f32_e32 v2, v19
	v_fmac_f32_e32 v12, 0x32a5705f, v14
	v_sub_f32_e32 v13, v24, v18
	v_cvt_i32_f32_e32 v19, v22
	v_cndmask_b32_e64 v3, 0, v3, s9
	v_cmp_ngt_f32_e64 s9, 0xc2ce8ed0, v1
	v_cvt_i32_f32_e32 v10, v18
	v_add_f32_e32 v9, v13, v12
	v_cndmask_b32_e64 v12, 0, v6, s8
	v_add_f32_e32 v3, v15, v3
	v_ldexp_f32 v2, v2, v19
	v_exp_f32_e32 v9, v9
	v_cndmask_b32_e64 v2, 0, v2, s9
	v_cmp_nlt_f32_e64 s9, 0x42b17218, v1
	v_cndmask_b32_e64 v1, 0x7f800000, v2, s9
	v_cmp_neq_f32_e64 s9, 0x7f800000, |v17|
	v_fma_f32 v3, v1, v3, v1
	v_cndmask_b32_e64 v2, 0, v4, s9
	v_ldexp_f32 v4, v9, v10
	v_cmp_ngt_f32_e64 s9, 0xc2ce8ed0, v14
	v_cndmask_b32_e64 v9, 1.0, v6, s8
	v_add_f32_e32 v2, v20, v2
	v_cndmask_b32_e64 v4, 0, v4, s9
	v_cmp_class_f32_e64 s9, v1, 0x204
	v_cndmask_b32_e64 v1, v3, v1, s9
	v_cmp_nlt_f32_e64 s9, 0x42b17218, v14
	v_bfi_b32 v1, 0x7fffffff, v1, v9
	v_cndmask_b32_e64 v3, 0x7f800000, v4, s9
	v_cndmask_b32_e64 v4, 0x7f800000, 0, s0
	s_and_b32 s0, s1, s7
	v_cmp_neq_f32_e64 s7, |v6|, 1.0
	v_cndmask_b32_e64 v11, 0x7fc00000, v1, s3
	v_fma_f32 v2, v3, v2, v3
	v_cmp_class_f32_e64 s3, v3, 0x204
	v_cndmask_b32_e64 v9, 1.0, v8, s0
	v_cndmask_b32_e64 v10, 1.0, v21, s7
	v_bfi_b32 v4, 0x7fffffff, v4, v12
	s_mov_b32 s9, 0
	v_cndmask_b32_e64 v2, v2, v3, s3
	v_cmp_gt_f32_e64 s3, 0, v6
	v_bfi_b32 v2, 0x7fffffff, v2, v9
	v_cndmask_b32_e64 v1, v1, v11, s3
	s_xor_b32 s3, s34, s35
	v_cndmask_b32_e64 v3, 0x7f800000, 0, s3
	v_cmp_class_f32_e64 s3, v5, 0x204
	v_cndmask_b32_e64 v1, v1, v10, s3
	s_xor_b32 s3, vcc_lo, s2
	s_or_b32 vcc_lo, s6, s38
	v_cndmask_b32_e64 v10, 0x7fc00000, v2, s1
	v_cndmask_b32_e64 v9, 0x7f800000, 0, s3
	v_cndmask_b32_e32 v1, v1, v4, vcc_lo
	v_cmp_neq_f32_e64 vcc_lo, |v8|, 1.0
	v_cndmask_b32_e64 v4, 0, v8, s0
	v_sub_f32_e32 v1, 1.0, v1
	v_cndmask_b32_e32 v3, 1.0, v3, vcc_lo
	v_cmp_gt_f32_e32 vcc_lo, 0, v8
	v_bfi_b32 v4, 0x7fffffff, v9, v4
	v_cndmask_b32_e32 v2, v2, v10, vcc_lo
	v_cmp_o_f32_e32 vcc_lo, v6, v5
	v_cndmask_b32_e32 v1, 0x7fc00000, v1, vcc_lo
	v_cmp_class_f32_e64 vcc_lo, v7, 0x204
	v_cmp_gt_f32_e64 s0, 0xf800000, v1
	v_cndmask_b32_e32 v2, v2, v3, vcc_lo
	v_mul_f32_e32 v3, 0x4f800000, v1
	s_or_b32 vcc_lo, s2, s36
	s_sub_u32 s2, s10, s30
	s_subb_u32 s3, s11, s31
	s_lshl_b64 s[6:7], s[28:29], 17
	v_cndmask_b32_e64 v1, v1, v3, s0
	s_add_u32 s1, s14, s6
	s_mov_b32 s29, s9
	s_and_b32 s28, s1, 7
	s_and_b32 s8, s12, 7
	v_sqrt_f32_e32 v3, v1
	s_cmp_lg_u64 s[28:29], 0
	v_cndmask_b32_e32 v2, v2, v4, vcc_lo
	s_cselect_b32 s30, -1, 0
	s_add_u32 s1, s18, s6
	v_cmp_o_f32_e32 vcc_lo, v8, v7
	s_and_b32 s28, s1, 7
	v_sub_f32_e32 v2, 1.0, v2
	s_cmp_lg_u64 s[28:29], 0
	s_mov_b32 s11, s9
	v_add_nc_u32_e32 v5, -1, v3
	s_cselect_b32 s20, -1, 0
	s_add_u32 s1, s26, s6
	v_add_nc_u32_e32 v6, 1, v3
	s_or_b32 s1, s24, s1
	v_fma_f32 v9, -v5, v3, v1
	s_and_b32 s1, s1, 7
	v_cndmask_b32_e32 v31, 0x7fc00000, v2, vcc_lo
	s_cmp_lg_u32 s1, 0
	v_fma_f32 v10, -v6, v3, v1
	v_cmp_ge_f32_e64 s1, 0, v9
	s_cselect_b32 s21, -1, 0
	s_and_b32 s10, s10, 3
	s_or_b32 s20, s21, s20
	s_or_b64 s[8:9], s[8:9], s[10:11]
	v_cndmask_b32_e64 v3, v3, v5, s1
	v_cmp_lt_f32_e64 s1, 0, v10
	v_cmp_class_f32_e64 vcc_lo, v1, 0x260
	v_cndmask_b32_e64 v3, v3, v6, s1
	s_or_b32 s1, s20, s30
	s_cmp_lg_u64 s[8:9], 0
	s_cselect_b32 s8, -1, 0
	v_mul_f32_e32 v4, 0x37800000, v3
	s_or_b32 s1, s1, s8
	v_cndmask_b32_e64 v3, v3, v4, s0
	s_mov_b32 s0, -1
	v_cndmask_b32_e32 v29, v3, v1, vcc_lo
	s_andn2_b32 vcc_lo, exec_lo, s1
	s_cbranch_vccz .LBB4_30
; %bb.7:
	v_cmp_gt_i64_e64 s0, 0x10000, s[2:3]
	v_mov_b32_e32 v2, 0
	v_lshlrev_b32_e32 v1, 2, v0
	s_mov_b32 s10, exec_lo
	s_and_b32 s0, s0, exec_lo
	s_cselect_b32 s9, s3, 0
	s_cselect_b32 s8, s2, 0x10000
	v_cmpx_gt_i64_e64 s[8:9], v[1:2]
	s_cbranch_execz .LBB4_29
; %bb.8:
	v_div_scale_f32 v3, null, v31, v31, v30
	v_div_scale_f32 v5, vcc_lo, v30, v31, v30
	s_load_dword s1, s[4:5], 0xd34
	v_rcp_f32_e32 v4, v3
	s_cmp_lg_u64 s[16:17], 0
	v_cmp_neq_f32_e64 s0, 0, v27
	v_mov_b32_e32 v32, 0x7fc0
	s_cselect_b32 s11, -1, 0
	s_mov_b32 s21, 0
	v_fma_f32 v1, -v3, v4, 1.0
	v_fmac_f32_e32 v4, v1, v4
	v_mov_b32_e32 v1, v2
	v_mul_f32_e32 v6, v5, v4
	v_fma_f32 v7, -v3, v6, v5
	v_fmac_f32_e32 v6, v7, v4
	v_lshlrev_b32_e32 v7, 3, v0
	v_fma_f32 v3, -v3, v6, v5
	v_add_co_u32 v33, s20, s6, v7
	v_add_co_ci_u32_e64 v34, null, s7, 0, s20
	v_div_fmas_f32 v3, v3, v4, v6
	s_waitcnt lgkmcnt(0)
	s_and_b32 s20, s1, 0xffff
	s_lshl_b32 s22, s20, 3
	v_div_fixup_f32 v35, v3, v31, v30
	v_mov_b32_e32 v4, v1
	v_mov_b32_e32 v3, v0
	s_branch .LBB4_10
.LBB4_9:                                ;   in Loop: Header=BB4_10 Depth=1
	v_bfe_u32 v11, v40, 16, 1
	v_bfe_u32 v12, v39, 16, 1
	v_cmp_o_f32_e32 vcc_lo, v39, v39
	v_bfe_u32 v14, v41, 16, 1
	v_bfe_u32 v13, v37, 16, 1
	v_add3_u32 v11, v40, v11, 0x7fff
	v_add3_u32 v12, v39, v12, 0x7fff
	v_bfe_u32 v15, v38, 16, 1
	v_add3_u32 v14, v41, v14, 0x7fff
	v_add3_u32 v13, v37, v13, 0x7fff
	v_lshrrev_b32_e32 v11, 16, v11
	v_cndmask_b32_sdwa v12, v32, v12, vcc_lo dst_sel:DWORD dst_unused:UNUSED_PAD src0_sel:DWORD src1_sel:WORD_1
	v_cmp_o_f32_e32 vcc_lo, v40, v40
	v_and_b32_e32 v14, 0xffff0000, v14
	v_bfe_u32 v16, v36, 16, 1
	v_lshrrev_b32_e32 v13, 16, v13
	v_add3_u32 v15, v38, v15, 0x7fff
	v_cndmask_b32_e32 v11, 0x7fc0, v11, vcc_lo
	v_cmp_o_f32_e32 vcc_lo, v41, v41
	v_add3_u32 v16, v36, v16, 0x7fff
	v_add_co_u32 v33, s1, v33, s22
	v_and_b32_e32 v15, 0xffff0000, v15
	v_cndmask_b32_e32 v14, 0x7fc00000, v14, vcc_lo
	v_cmp_o_f32_e32 vcc_lo, v37, v37
	v_add_co_ci_u32_e64 v34, null, 0, v34, s1
	v_or_b32_e32 v18, v14, v12
	v_cndmask_b32_e32 v13, 0x7fc0, v13, vcc_lo
	v_cmp_o_f32_e32 vcc_lo, v38, v38
	v_and_b32_e32 v12, 0xffff0000, v16
	v_bfe_u32 v14, v17, 16, 1
	v_bfe_u32 v16, v19, 16, 1
	v_cndmask_b32_e32 v15, 0x7fc00000, v15, vcc_lo
	v_cmp_o_f32_e32 vcc_lo, v36, v36
	v_add3_u32 v14, v17, v14, 0x7fff
	v_or_b32_e32 v15, v15, v11
	v_cndmask_b32_e32 v12, 0x7fc00000, v12, vcc_lo
	v_add3_u32 v11, v19, v16, 0x7fff
	v_bfe_u32 v16, v20, 16, 1
	v_cmp_o_f32_e32 vcc_lo, v17, v17
	v_bfe_u32 v17, v22, 16, 1
	v_or_b32_e32 v23, v12, v13
	v_lshrrev_b32_e32 v12, 16, v14
	v_bfe_u32 v13, v1, 16, 1
	v_lshrrev_b32_e32 v11, 16, v11
	v_add3_u32 v14, v20, v16, 0x7fff
	v_add3_u32 v17, v22, v17, 0x7fff
	v_cndmask_b32_e32 v12, 0x7fc0, v12, vcc_lo
	v_cmp_o_f32_e32 vcc_lo, v19, v19
	v_add3_u32 v13, v1, v13, 0x7fff
	v_or3_b32 v15, v15, 0, 0
	v_cndmask_b32_e32 v16, 0x7fc0, v11, vcc_lo
	v_and_b32_e32 v11, 0xffff0000, v14
	v_cmp_o_f32_e32 vcc_lo, v20, v20
	v_bfe_u32 v14, v21, 16, 1
	v_lshrrev_b32_e32 v13, 16, v13
	v_cndmask_b32_e32 v11, 0x7fc00000, v11, vcc_lo
	v_cmp_o_f32_e32 vcc_lo, v1, v1
	v_add3_u32 v14, v21, v14, 0x7fff
	v_or3_b32 v12, 0, v12, v11
	v_cndmask_b32_e32 v1, 0x7fc0, v13, vcc_lo
	v_add_co_u32 v3, vcc_lo, v3, s20
	v_and_b32_e32 v11, 0xffff0000, v14
	v_add_co_ci_u32_e64 v4, null, 0, v4, vcc_lo
	v_cmp_o_f32_e32 vcc_lo, v21, v21
	v_and_b32_e32 v13, 0xffff0000, v17
	v_cndmask_b32_e32 v17, 0x7fc00000, v11, vcc_lo
	v_cmp_o_f32_e32 vcc_lo, v22, v22
	v_or3_b32 v11, v18, 0, 0
	v_or3_b32 v16, 0, v16, v17
	v_cndmask_b32_e32 v19, 0x7fc00000, v13, vcc_lo
	v_lshlrev_b64 v[13:14], 2, v[3:4]
	v_or3_b32 v17, v23, 0, 0
	global_store_dwordx2 v[5:6], v[11:12], off
	v_or3_b32 v18, 0, v1, v19
	global_store_dwordx2 v[7:8], v[15:16], off
	global_store_dwordx2 v[9:10], v[17:18], off
	v_cmp_le_i64_e32 vcc_lo, s[8:9], v[13:14]
	s_or_b32 s21, vcc_lo, s21
	s_andn2_b32 exec_lo, exec_lo, s21
	s_cbranch_execz .LBB4_29
.LBB4_10:                               ; =>This Inner Loop Header: Depth=1
	v_add_co_u32 v11, vcc_lo, s14, v33
	v_add_co_ci_u32_e64 v12, null, s15, v34, vcc_lo
	v_add_co_u32 v15, vcc_lo, s12, v33
	v_add_co_ci_u32_e64 v16, null, s13, v34, vcc_lo
	;; [unrolled: 2-line block ×4, first 2 shown]
	v_add_co_u32 v9, vcc_lo, s24, v33
	global_load_dwordx2 v[13:14], v[11:12], off
	v_add_co_ci_u32_e64 v10, null, s25, v34, vcc_lo
	global_load_dwordx2 v[17:18], v[15:16], off
	global_load_dwordx2 v[19:20], v[5:6], off
	;; [unrolled: 1-line block ×4, first 2 shown]
	s_andn2_b32 vcc_lo, exec_lo, s11
	s_waitcnt vmcnt(4)
	v_lshlrev_b32_e32 v1, 16, v13
	s_cbranch_vccnz .LBB4_12
; %bb.11:                               ;   in Loop: Header=BB4_10 Depth=1
	global_load_dword v36, v2, s[16:17]
	s_waitcnt vmcnt(0)
	v_div_scale_f32 v37, null, v36, v36, v1
	v_rcp_f32_e32 v38, v37
	v_fma_f32 v39, -v37, v38, 1.0
	v_fmac_f32_e32 v38, v39, v38
	v_div_scale_f32 v39, vcc_lo, v1, v36, v1
	v_mul_f32_e32 v40, v39, v38
	v_fma_f32 v41, -v37, v40, v39
	v_fmac_f32_e32 v40, v41, v38
	v_fma_f32 v37, -v37, v40, v39
	v_div_fmas_f32 v37, v37, v38, v40
	v_div_fixup_f32 v1, v37, v36, v1
.LBB4_12:                               ;   in Loop: Header=BB4_10 Depth=1
	s_andn2_b32 vcc_lo, exec_lo, s11
	s_cbranch_vccnz .LBB4_14
; %bb.13:                               ;   in Loop: Header=BB4_10 Depth=1
	v_bfe_u32 v36, v1, 16, 1
	v_cmp_o_f32_e32 vcc_lo, v1, v1
	v_and_b32_e32 v13, 0xffff0000, v13
	v_add3_u32 v36, v1, v36, 0x7fff
	v_cndmask_b32_sdwa v36, v32, v36, vcc_lo dst_sel:DWORD dst_unused:UNUSED_PAD src0_sel:DWORD src1_sel:WORD_1
	v_or_b32_e32 v13, v36, v13
.LBB4_14:                               ;   in Loop: Header=BB4_10 Depth=1
	v_and_b32_e32 v36, 0xffff0000, v13
	s_andn2_b32 vcc_lo, exec_lo, s11
	s_cbranch_vccnz .LBB4_16
; %bb.15:                               ;   in Loop: Header=BB4_10 Depth=1
	global_load_dword v37, v2, s[16:17]
	s_waitcnt vmcnt(0)
	v_div_scale_f32 v38, null, v37, v37, v36
	v_rcp_f32_e32 v39, v38
	v_fma_f32 v40, -v38, v39, 1.0
	v_fmac_f32_e32 v39, v40, v39
	v_div_scale_f32 v40, vcc_lo, v36, v37, v36
	v_mul_f32_e32 v41, v40, v39
	v_fma_f32 v42, -v38, v41, v40
	v_fmac_f32_e32 v41, v42, v39
	v_fma_f32 v38, -v38, v41, v40
	v_div_fmas_f32 v38, v38, v39, v41
	v_div_fixup_f32 v36, v38, v37, v36
.LBB4_16:                               ;   in Loop: Header=BB4_10 Depth=1
	s_andn2_b32 vcc_lo, exec_lo, s11
	s_cbranch_vccnz .LBB4_18
; %bb.17:                               ;   in Loop: Header=BB4_10 Depth=1
	v_bfe_u32 v37, v36, 16, 1
	v_cmp_o_f32_e32 vcc_lo, v36, v36
	v_add3_u32 v37, v36, v37, 0x7fff
	v_and_b32_e32 v37, 0xffff0000, v37
	v_cndmask_b32_e32 v37, 0x7fc00000, v37, vcc_lo
	v_or_b32_sdwa v13, v37, v13 dst_sel:DWORD dst_unused:UNUSED_PAD src0_sel:DWORD src1_sel:WORD_0
.LBB4_18:                               ;   in Loop: Header=BB4_10 Depth=1
	v_alignbit_b32 v37, v14, v13, 16
	s_andn2_b32 vcc_lo, exec_lo, s11
	v_and_b32_e32 v43, 0xffff0000, v37
	s_cbranch_vccnz .LBB4_20
; %bb.19:                               ;   in Loop: Header=BB4_10 Depth=1
	global_load_dword v37, v2, s[16:17]
	s_waitcnt vmcnt(0)
	v_div_scale_f32 v38, null, v37, v37, v43
	v_rcp_f32_e32 v39, v38
	v_fma_f32 v40, -v38, v39, 1.0
	v_fmac_f32_e32 v39, v40, v39
	v_div_scale_f32 v40, vcc_lo, v43, v37, v43
	v_mul_f32_e32 v41, v40, v39
	v_fma_f32 v42, -v38, v41, v40
	v_fmac_f32_e32 v41, v42, v39
	v_fma_f32 v38, -v38, v41, v40
	v_div_fmas_f32 v38, v38, v39, v41
	v_div_fixup_f32 v43, v38, v37, v43
.LBB4_20:                               ;   in Loop: Header=BB4_10 Depth=1
	s_andn2_b32 vcc_lo, exec_lo, s11
	s_cbranch_vccnz .LBB4_22
; %bb.21:                               ;   in Loop: Header=BB4_10 Depth=1
	v_bfe_u32 v37, v43, 16, 1
	v_cmp_o_f32_e32 vcc_lo, v43, v43
	v_and_b32_e32 v14, 0xffff0000, v14
	v_add3_u32 v37, v43, v37, 0x7fff
	v_cndmask_b32_sdwa v37, v32, v37, vcc_lo dst_sel:DWORD dst_unused:UNUSED_PAD src0_sel:DWORD src1_sel:WORD_1
	v_or_b32_e32 v14, v37, v14
.LBB4_22:                               ;   in Loop: Header=BB4_10 Depth=1
	v_and_b32_e32 v42, 0xffff0000, v14
	s_andn2_b32 vcc_lo, exec_lo, s11
	s_cbranch_vccnz .LBB4_24
; %bb.23:                               ;   in Loop: Header=BB4_10 Depth=1
	global_load_dword v37, v2, s[16:17]
	s_waitcnt vmcnt(0)
	v_div_scale_f32 v38, null, v37, v37, v42
	v_rcp_f32_e32 v39, v38
	v_fma_f32 v40, -v38, v39, 1.0
	v_fmac_f32_e32 v39, v40, v39
	v_div_scale_f32 v40, vcc_lo, v42, v37, v42
	v_mul_f32_e32 v41, v40, v39
	v_fma_f32 v44, -v38, v41, v40
	v_fmac_f32_e32 v41, v44, v39
	v_fma_f32 v38, -v38, v41, v40
	v_div_fmas_f32 v38, v38, v39, v41
	v_div_fixup_f32 v42, v38, v37, v42
.LBB4_24:                               ;   in Loop: Header=BB4_10 Depth=1
	s_andn2_b32 vcc_lo, exec_lo, s11
	s_cbranch_vccnz .LBB4_26
; %bb.25:                               ;   in Loop: Header=BB4_10 Depth=1
	v_bfe_u32 v37, v42, 16, 1
	v_cmp_o_f32_e32 vcc_lo, v42, v42
	v_add3_u32 v37, v42, v37, 0x7fff
	v_and_b32_e32 v37, 0xffff0000, v37
	v_cndmask_b32_e32 v37, 0x7fc00000, v37, vcc_lo
	v_or_b32_sdwa v14, v37, v14 dst_sel:DWORD dst_unused:UNUSED_PAD src0_sel:DWORD src1_sel:WORD_0
.LBB4_26:                               ;   in Loop: Header=BB4_10 Depth=1
	s_waitcnt vmcnt(3)
	v_lshlrev_b32_e32 v44, 16, v17
	v_cndmask_b32_e64 v1, v1, -v1, s33
	s_waitcnt vmcnt(1)
	v_lshlrev_b32_e32 v38, 16, v21
	v_and_b32_e32 v45, 0xffff0000, v17
	v_cndmask_b32_e64 v36, v36, -v36, s33
	s_waitcnt vmcnt(0)
	v_lshlrev_b32_e32 v41, 16, v23
	v_fma_f32 v39, v27, v44, v1
	v_lshlrev_b32_e32 v37, 16, v19
	v_and_b32_e32 v46, 0xffff0000, v21
	v_and_b32_e32 v47, 0xffff0000, v23
	v_cndmask_b32_e64 v1, v1, v39, s0
	v_fma_f32 v39, -v26, v1, v1
	v_mul_f32_e32 v1, v1, v1
	v_fmac_f32_e32 v39, v26, v37
	v_fma_f32 v40, -v25, v1, v1
	v_max_f32_e32 v1, v41, v41
	v_fmac_f32_e32 v40, v25, v38
	v_fma_f32 v38, v27, v45, v36
	v_max_f32_e32 v37, v1, v40
	v_cndmask_b32_e64 v36, v36, v38, s0
	v_and_b32_e32 v1, 0xffff0000, v19
	v_cmp_gt_f32_e32 vcc_lo, 0xf800000, v37
	v_fma_f32 v41, -v26, v36, v36
	v_fmac_f32_e32 v41, v26, v1
	v_mul_f32_e32 v1, v36, v36
	v_fma_f32 v38, -v25, v1, v1
	v_max_f32_e32 v1, v47, v47
	v_fmac_f32_e32 v38, v25, v46
	v_max_f32_e32 v36, v1, v38
	v_alignbit_b32 v1, v18, v17, 16
	v_alignbit_b32 v17, v22, v21, 16
	v_and_b32_e32 v18, 0xffff0000, v18
	v_and_b32_e32 v22, 0xffff0000, v22
	;; [unrolled: 1-line block ×4, first 2 shown]
	v_alignbit_b32 v17, v24, v23, 16
	v_alignbit_b32 v1, v20, v19, 16
	v_and_b32_e32 v23, 0xffff0000, v17
	v_cndmask_b32_e64 v17, v43, -v43, s33
	v_and_b32_e32 v1, 0xffff0000, v1
	v_fma_f32 v19, v27, v46, v17
	v_cndmask_b32_e64 v19, v17, v19, s0
	v_fma_f32 v17, -v26, v19, v19
	v_fmac_f32_e32 v17, v26, v1
	v_mul_f32_e32 v1, v19, v19
	v_fma_f32 v19, -v25, v1, v1
	v_max_f32_e32 v1, v23, v23
	v_and_b32_e32 v23, 0xffff0000, v24
	v_fmac_f32_e32 v19, v25, v21
	v_and_b32_e32 v21, 0xffff0000, v20
	v_mul_f32_e32 v20, 0x4f800000, v37
	v_max_f32_e32 v1, v1, v19
	v_cndmask_b32_e32 v20, v37, v20, vcc_lo
	v_sqrt_f32_e32 v24, v20
	v_add_nc_u32_e32 v43, -1, v24
	v_fma_f32 v47, -v43, v24, v20
	v_cmp_ge_f32_e64 s1, 0, v47
	v_add_nc_u32_e32 v47, 1, v24
	v_cndmask_b32_e64 v43, v24, v43, s1
	v_fma_f32 v24, -v47, v24, v20
	v_cmp_lt_f32_e64 s1, 0, v24
	v_cndmask_b32_e64 v24, v43, v47, s1
	v_mul_f32_e32 v43, 0x37800000, v24
	v_cndmask_b32_e32 v24, v24, v43, vcc_lo
	v_cmp_class_f32_e64 vcc_lo, v20, 0x260
	v_cndmask_b32_e32 v20, v24, v20, vcc_lo
	v_div_scale_f32 v24, null, v29, v29, v20
	v_rcp_f32_e32 v43, v24
	v_fma_f32 v47, -v24, v43, 1.0
	v_fmac_f32_e32 v43, v47, v43
	v_div_scale_f32 v47, vcc_lo, v20, v29, v20
	v_mul_f32_e32 v48, v47, v43
	v_fma_f32 v49, -v24, v48, v47
	v_fmac_f32_e32 v48, v49, v43
	v_fma_f32 v24, -v24, v48, v47
	v_div_fmas_f32 v24, v24, v43, v48
	v_div_fixup_f32 v20, v24, v29, v20
	v_mul_f32_e32 v24, v35, v39
	v_add_f32_e32 v20, v20, v28
	v_div_scale_f32 v43, null, v20, v20, v24
	v_rcp_f32_e32 v47, v43
	v_fma_f32 v48, -v43, v47, 1.0
	v_fmac_f32_e32 v47, v48, v47
	v_div_scale_f32 v48, vcc_lo, v24, v20, v24
	v_mul_f32_e32 v49, v48, v47
	v_fma_f32 v50, -v43, v49, v48
	v_fmac_f32_e32 v49, v50, v47
	v_fma_f32 v43, -v43, v49, v48
	v_div_fmas_f32 v43, v43, v47, v49
	v_div_fixup_f32 v20, v43, v20, v24
	v_sub_f32_e32 v20, v44, v20
	v_bfe_u32 v24, v20, 16, 1
	v_cmp_o_f32_e32 vcc_lo, v20, v20
	v_add3_u32 v24, v20, v24, 0x7fff
	v_lshrrev_b32_e32 v24, 16, v24
	v_cndmask_b32_e32 v20, 0x7fc0, v24, vcc_lo
	v_cmp_gt_f32_e32 vcc_lo, 0xf800000, v36
	v_mul_f32_e32 v24, 0x4f800000, v36
	v_cndmask_b32_e32 v24, v36, v24, vcc_lo
	v_sqrt_f32_e32 v43, v24
	v_add_nc_u32_e32 v44, -1, v43
	v_fma_f32 v47, -v44, v43, v24
	v_cmp_ge_f32_e64 s1, 0, v47
	v_add_nc_u32_e32 v47, 1, v43
	v_cndmask_b32_e64 v44, v43, v44, s1
	v_fma_f32 v43, -v47, v43, v24
	v_cmp_lt_f32_e64 s1, 0, v43
	v_cndmask_b32_e64 v43, v44, v47, s1
	v_mul_f32_e32 v44, 0x37800000, v43
	v_cndmask_b32_e32 v43, v43, v44, vcc_lo
	v_cmp_class_f32_e64 vcc_lo, v24, 0x260
	v_cndmask_b32_e32 v24, v43, v24, vcc_lo
	v_div_scale_f32 v43, null, v29, v29, v24
	v_rcp_f32_e32 v44, v43
	v_fma_f32 v47, -v43, v44, 1.0
	v_fmac_f32_e32 v44, v47, v44
	v_div_scale_f32 v47, vcc_lo, v24, v29, v24
	v_mul_f32_e32 v48, v47, v44
	v_fma_f32 v49, -v43, v48, v47
	v_fmac_f32_e32 v48, v49, v44
	v_fma_f32 v43, -v43, v48, v47
	v_div_fmas_f32 v43, v43, v44, v48
	v_div_fixup_f32 v24, v43, v29, v24
	v_mul_f32_e32 v43, v35, v41
	v_add_f32_e32 v24, v24, v28
	v_div_scale_f32 v44, null, v24, v24, v43
	v_rcp_f32_e32 v47, v44
	v_fma_f32 v48, -v44, v47, 1.0
	v_fmac_f32_e32 v47, v48, v47
	v_div_scale_f32 v48, vcc_lo, v43, v24, v43
	v_mul_f32_e32 v49, v48, v47
	v_fma_f32 v50, -v44, v49, v48
	v_fmac_f32_e32 v49, v50, v47
	v_fma_f32 v44, -v44, v49, v48
	v_div_fmas_f32 v44, v44, v47, v49
	v_div_fixup_f32 v24, v44, v24, v43
	v_sub_f32_e32 v24, v45, v24
	v_bfe_u32 v43, v24, 16, 1
	v_cmp_o_f32_e32 vcc_lo, v24, v24
	v_add3_u32 v43, v24, v43, 0x7fff
	v_and_b32_e32 v43, 0xffff0000, v43
	v_cndmask_b32_e32 v24, 0x7fc00000, v43, vcc_lo
	v_cmp_gt_f32_e32 vcc_lo, 0xf800000, v1
	v_or_b32_e32 v43, v24, v20
	v_mul_f32_e32 v20, 0x4f800000, v1
	v_cndmask_b32_e32 v20, v1, v20, vcc_lo
	v_sqrt_f32_e32 v24, v20
	v_add_nc_u32_e32 v44, -1, v24
	v_fma_f32 v45, -v44, v24, v20
	v_cmp_ge_f32_e64 s1, 0, v45
	v_add_nc_u32_e32 v45, 1, v24
	v_cndmask_b32_e64 v44, v24, v44, s1
	v_fma_f32 v24, -v45, v24, v20
	v_cmp_lt_f32_e64 s1, 0, v24
	v_cndmask_b32_e64 v24, v44, v45, s1
	v_mul_f32_e32 v44, 0x37800000, v24
	v_cndmask_b32_e32 v24, v24, v44, vcc_lo
	v_cmp_class_f32_e64 vcc_lo, v20, 0x260
	v_cndmask_b32_e32 v20, v24, v20, vcc_lo
	v_div_scale_f32 v24, null, v29, v29, v20
	v_rcp_f32_e32 v44, v24
	v_fma_f32 v45, -v24, v44, 1.0
	v_fmac_f32_e32 v44, v45, v44
	v_div_scale_f32 v45, vcc_lo, v20, v29, v20
	v_mul_f32_e32 v47, v45, v44
	v_fma_f32 v48, -v24, v47, v45
	v_fmac_f32_e32 v47, v48, v44
	v_fma_f32 v24, -v24, v47, v45
	v_div_fmas_f32 v24, v24, v44, v47
	v_div_fixup_f32 v20, v24, v29, v20
	v_mul_f32_e32 v24, v35, v17
	v_add_f32_e32 v20, v20, v28
	v_div_scale_f32 v44, null, v20, v20, v24
	v_rcp_f32_e32 v45, v44
	v_fma_f32 v47, -v44, v45, 1.0
	v_fmac_f32_e32 v45, v47, v45
	v_div_scale_f32 v47, vcc_lo, v24, v20, v24
	v_mul_f32_e32 v48, v47, v45
	v_fma_f32 v49, -v44, v48, v47
	v_fmac_f32_e32 v48, v49, v45
	v_fma_f32 v44, -v44, v48, v47
	v_div_fmas_f32 v44, v44, v45, v48
	v_div_fixup_f32 v20, v44, v20, v24
	v_sub_f32_e32 v20, v46, v20
	v_bfe_u32 v24, v20, 16, 1
	v_cmp_o_f32_e32 vcc_lo, v20, v20
	v_add3_u32 v24, v20, v24, 0x7fff
	v_cndmask_b32_e64 v20, v42, -v42, s33
	v_lshrrev_b32_e32 v24, 16, v24
	v_fma_f32 v42, v27, v18, v20
	v_cndmask_b32_e32 v24, 0x7fc0, v24, vcc_lo
	v_cndmask_b32_e64 v42, v20, v42, s0
	v_fma_f32 v20, -v26, v42, v42
	v_fmac_f32_e32 v20, v26, v21
	v_mul_f32_e32 v21, v42, v42
	v_fma_f32 v21, -v25, v21, v21
	v_fmac_f32_e32 v21, v25, v22
	v_max_f32_e32 v22, v23, v23
	v_max_f32_e32 v22, v22, v21
	v_cmp_gt_f32_e32 vcc_lo, 0xf800000, v22
	v_mul_f32_e32 v23, 0x4f800000, v22
	v_cndmask_b32_e32 v23, v22, v23, vcc_lo
	v_sqrt_f32_e32 v42, v23
	v_add_nc_u32_e32 v44, -1, v42
	v_fma_f32 v45, -v44, v42, v23
	v_cmp_ge_f32_e64 s1, 0, v45
	v_add_nc_u32_e32 v45, 1, v42
	v_cndmask_b32_e64 v44, v42, v44, s1
	v_fma_f32 v42, -v45, v42, v23
	v_cmp_lt_f32_e64 s1, 0, v42
	v_cndmask_b32_e64 v42, v44, v45, s1
	v_mul_f32_e32 v44, 0x37800000, v42
	v_cndmask_b32_e32 v42, v42, v44, vcc_lo
	v_cmp_class_f32_e64 vcc_lo, v23, 0x260
	v_cndmask_b32_e32 v23, v42, v23, vcc_lo
	v_div_scale_f32 v42, null, v29, v29, v23
	v_rcp_f32_e32 v44, v42
	v_fma_f32 v45, -v42, v44, 1.0
	v_fmac_f32_e32 v44, v45, v44
	v_div_scale_f32 v45, vcc_lo, v23, v29, v23
	v_mul_f32_e32 v46, v45, v44
	v_fma_f32 v47, -v42, v46, v45
	v_fmac_f32_e32 v46, v47, v44
	v_fma_f32 v42, -v42, v46, v45
	v_div_fmas_f32 v42, v42, v44, v46
	v_div_fixup_f32 v23, v42, v29, v23
	v_mul_f32_e32 v42, v35, v20
	v_add_f32_e32 v23, v23, v28
	v_div_scale_f32 v44, null, v23, v23, v42
	v_rcp_f32_e32 v45, v44
	v_fma_f32 v46, -v44, v45, 1.0
	v_fmac_f32_e32 v45, v46, v45
	v_div_scale_f32 v46, vcc_lo, v42, v23, v42
	v_mul_f32_e32 v47, v46, v45
	v_fma_f32 v48, -v44, v47, v46
	v_fmac_f32_e32 v47, v48, v45
	v_fma_f32 v44, -v44, v47, v46
	v_div_fmas_f32 v44, v44, v45, v47
	v_div_fixup_f32 v23, v44, v23, v42
	v_sub_f32_e32 v18, v18, v23
	v_bfe_u32 v23, v18, 16, 1
	v_cmp_o_f32_e32 vcc_lo, v18, v18
	v_add3_u32 v23, v18, v23, 0x7fff
	v_and_b32_e32 v23, 0xffff0000, v23
	v_cndmask_b32_e32 v18, 0x7fc00000, v23, vcc_lo
	v_or3_b32 v23, v43, 0, 0
	s_andn2_b32 vcc_lo, exec_lo, s11
	v_or3_b32 v24, 0, v24, v18
	global_store_dwordx2 v[15:16], v[23:24], off
	s_cbranch_vccnz .LBB4_9
; %bb.27:                               ;   in Loop: Header=BB4_10 Depth=1
	global_store_dwordx2 v[11:12], v[13:14], off
	s_branch .LBB4_9
.LBB4_28:
                                        ; implicit-def: $sgpr6
	v_mov_b32_e32 v30, s6
	s_branch .LBB4_2
.LBB4_29:
	s_or_b32 exec_lo, exec_lo, s10
	s_mov_b32 s0, 0
.LBB4_30:
	s_andn2_b32 vcc_lo, exec_lo, s0
	s_cbranch_vccnz .LBB4_116
; %bb.31:
	v_cmp_lt_i64_e64 s0, s[2:3], 1
	s_and_b32 vcc_lo, exec_lo, s0
	s_cbranch_vccnz .LBB4_116
; %bb.32:
	v_div_scale_f32 v3, null, v31, v31, v30
	v_div_scale_f32 v5, vcc_lo, v30, v31, v30
	s_load_dword s4, s[4:5], 0xd34
	v_rcp_f32_e32 v4, v3
	v_lshlrev_b32_e32 v1, 1, v0
	v_cmp_gt_i64_e64 s1, 0x10000, s[2:3]
	v_mov_b32_e32 v2, 0
	v_cmp_gt_u64_e64 s5, 0x10000, s[2:3]
	v_cmp_neq_f32_e64 s0, 0, v27
	v_add_co_u32 v13, s8, s12, v1
	v_add_co_ci_u32_e64 v14, null, s13, 0, s8
	v_fma_f32 v6, -v3, v4, 1.0
	v_add_co_u32 v15, s8, s14, v1
	v_add_co_ci_u32_e64 v16, null, s15, 0, s8
	v_fmac_f32_e32 v4, v6, v4
	v_add_co_u32 v17, s8, s18, v1
	v_add_co_ci_u32_e64 v18, null, s19, 0, s8
	v_mul_f32_e32 v6, v5, v4
	v_add_co_u32 v19, s8, s26, v1
	s_and_b32 s1, s1, exec_lo
	v_add_co_ci_u32_e64 v20, null, s27, 0, s8
	v_fma_f32 v7, -v3, v6, v5
	s_cselect_b32 s9, s3, 0
	s_cselect_b32 s8, s2, 0x10000
	s_waitcnt lgkmcnt(0)
	s_and_b32 s1, s4, 0xffff
	s_and_b32 s4, s5, exec_lo
	v_fmac_f32_e32 v6, v7, v4
	s_cselect_b32 s11, s3, 0
	s_cselect_b32 s10, s2, 0x10000
	s_lshl_b32 s2, s1, 1
	s_cmp_lg_u64 s[16:17], 0
	v_fma_f32 v3, -v3, v6, v5
	s_cselect_b32 s20, -1, 0
	s_lshl_b32 s21, s1, 2
	v_add_co_u32 v22, s4, s24, v1
	v_div_fmas_f32 v5, v3, v4, v6
	v_mad_u64_u32 v[3:4], null, s1, 6, v[1:2]
	v_add_co_ci_u32_e64 v23, null, s25, 0, s4
	v_div_fixup_f32 v21, v5, v31, v30
	s_mul_i32 s3, s1, 3
	v_add_co_u32 v52, s2, s2, v0
	v_add_co_u32 v24, vcc_lo, s12, v3
	v_add_co_ci_u32_e64 v30, null, s13, v4, vcc_lo
	v_add_co_u32 v31, vcc_lo, s14, v3
	v_add_co_ci_u32_e64 v32, null, s15, v4, vcc_lo
	;; [unrolled: 2-line block ×4, first 2 shown]
	v_add_co_u32 v37, vcc_lo, s24, v3
	v_add_co_u32 v3, s4, s21, v1
	v_add_co_ci_u32_e64 v38, null, s25, v4, vcc_lo
	v_add_co_ci_u32_e64 v4, null, 0, 0, s4
	v_add_co_u32 v40, vcc_lo, s12, v3
	v_add_co_u32 v1, s3, s3, v0
	v_add_co_ci_u32_e64 v41, null, s13, v4, vcc_lo
	v_add_co_u32 v42, vcc_lo, s14, v3
	v_add_co_ci_u32_e64 v39, null, 0, 0, s3
	v_add_co_u32 v48, s3, v0, s1
	v_add_co_ci_u32_e64 v43, null, s15, v4, vcc_lo
	v_add_co_u32 v44, vcc_lo, s18, v3
	v_add_co_ci_u32_e64 v45, null, s19, v4, vcc_lo
	v_add_co_u32 v46, vcc_lo, s26, v3
	;; [unrolled: 2-line block ×3, first 2 shown]
	v_lshlrev_b32_e32 v3, 1, v48
	v_add_co_ci_u32_e64 v53, null, 0, 0, s2
	v_add_co_ci_u32_e64 v50, null, s25, v4, vcc_lo
	v_add_co_u32 v54, s2, s12, v3
	v_add_co_ci_u32_e64 v55, null, s13, 0, s2
	v_add_co_u32 v56, s2, s14, v3
	v_add_co_ci_u32_e64 v57, null, s15, 0, s2
	;; [unrolled: 2-line block ×5, first 2 shown]
	v_add_co_ci_u32_e64 v63, null, s25, 0, s2
	v_mov_b32_e32 v64, 0x7fc0
	s_mov_b32 s14, 0
	s_mov_b64 s[12:13], 0
	s_lshl_b32 s15, s1, 3
	s_branch .LBB4_34
.LBB4_33:                               ;   in Loop: Header=BB4_34 Depth=1
	s_or_b32 exec_lo, exec_lo, s1
	v_add_co_u32 v13, vcc_lo, v13, s15
	v_add_co_ci_u32_e64 v14, null, 0, v14, vcc_lo
	v_add_co_u32 v15, vcc_lo, v15, s15
	v_add_co_ci_u32_e64 v16, null, 0, v16, vcc_lo
	;; [unrolled: 2-line block ×16, first 2 shown]
	v_add_co_u32 v56, vcc_lo, v56, s15
	s_add_u32 s12, s12, s21
	v_add_co_ci_u32_e64 v57, null, 0, v57, vcc_lo
	v_add_co_u32 v58, vcc_lo, v58, s15
	s_addc_u32 s13, s13, 0
	v_add_co_ci_u32_e64 v59, null, 0, v59, vcc_lo
	v_add_co_u32 v60, vcc_lo, v60, s15
	v_cmp_ge_i64_e64 s1, s[12:13], s[8:9]
	v_add_co_ci_u32_e64 v61, null, 0, v61, vcc_lo
	v_add_co_u32 v62, vcc_lo, v62, s15
	v_add_co_ci_u32_e64 v63, null, 0, v63, vcc_lo
	s_and_b32 vcc_lo, exec_lo, s1
	s_cbranch_vccnz .LBB4_116
.LBB4_34:                               ; =>This Inner Loop Header: Depth=1
	v_add_co_u32 v3, s1, v0, s12
	v_add_co_ci_u32_e64 v4, null, 0, s13, s1
	v_mov_b32_e32 v5, 0
	v_mov_b32_e32 v7, 0
	;; [unrolled: 1-line block ×3, first 2 shown]
	v_cmp_gt_u64_e64 s1, s[10:11], v[3:4]
	v_mov_b32_e32 v3, 0
	v_mov_b32_e32 v4, 0
	;; [unrolled: 1-line block ×3, first 2 shown]
	s_and_saveexec_b32 s2, s1
	s_cbranch_execz .LBB4_36
; %bb.35:                               ;   in Loop: Header=BB4_34 Depth=1
	v_add_co_u32 v3, vcc_lo, v13, s6
	v_add_co_ci_u32_e64 v4, null, s7, v14, vcc_lo
	v_add_co_u32 v7, vcc_lo, v15, s6
	v_add_co_ci_u32_e64 v8, null, s7, v16, vcc_lo
	global_load_ushort v3, v[3:4], off
	global_load_ushort v4, v[7:8], off
	v_mov_b32_e32 v8, s14
	s_waitcnt vmcnt(1)
	v_and_b32_e32 v7, 0xffff, v3
	s_waitcnt vmcnt(0)
	v_and_b32_e32 v3, 0xffff, v4
	v_mov_b32_e32 v4, s14
.LBB4_36:                               ;   in Loop: Header=BB4_34 Depth=1
	s_or_b32 exec_lo, exec_lo, s2
	v_mov_b32_e32 v9, 0
	v_mov_b32_e32 v10, 0
	s_and_saveexec_b32 s2, s1
	s_cbranch_execz .LBB4_38
; %bb.37:                               ;   in Loop: Header=BB4_34 Depth=1
	v_add_co_u32 v5, vcc_lo, v17, s6
	v_add_co_ci_u32_e64 v6, null, s7, v18, vcc_lo
	v_add_co_u32 v9, vcc_lo, v19, s6
	v_add_co_ci_u32_e64 v10, null, s7, v20, vcc_lo
	global_load_ushort v5, v[5:6], off
	global_load_ushort v6, v[9:10], off
	v_mov_b32_e32 v10, s14
	s_waitcnt vmcnt(1)
	v_and_b32_e32 v9, 0xffff, v5
	s_waitcnt vmcnt(0)
	v_and_b32_e32 v5, 0xffff, v6
	v_mov_b32_e32 v6, s14
.LBB4_38:                               ;   in Loop: Header=BB4_34 Depth=1
	s_or_b32 exec_lo, exec_lo, s2
	v_mov_b32_e32 v11, 0
	v_mov_b32_e32 v12, 0
	s_and_saveexec_b32 s2, s1
	s_cbranch_execz .LBB4_40
; %bb.39:                               ;   in Loop: Header=BB4_34 Depth=1
	v_add_co_u32 v11, vcc_lo, v22, s6
	v_add_co_ci_u32_e64 v12, null, s7, v23, vcc_lo
	global_load_ushort v11, v[11:12], off
	v_mov_b32_e32 v12, s14
	s_waitcnt vmcnt(0)
	v_and_b32_e32 v11, 0xffff, v11
.LBB4_40:                               ;   in Loop: Header=BB4_34 Depth=1
	s_or_b32 exec_lo, exec_lo, s2
	v_add_co_u32 v65, vcc_lo, v48, s12
	v_add_co_ci_u32_e64 v66, null, s13, v51, vcc_lo
	v_cmp_gt_u64_e64 s2, s[10:11], v[65:66]
	s_and_saveexec_b32 s3, s2
	s_cbranch_execnz .LBB4_96
; %bb.41:                               ;   in Loop: Header=BB4_34 Depth=1
	s_or_b32 exec_lo, exec_lo, s3
	s_and_saveexec_b32 s3, s2
	s_cbranch_execnz .LBB4_97
.LBB4_42:                               ;   in Loop: Header=BB4_34 Depth=1
	s_or_b32 exec_lo, exec_lo, s3
	s_and_saveexec_b32 s3, s2
	s_cbranch_execz .LBB4_44
.LBB4_43:                               ;   in Loop: Header=BB4_34 Depth=1
	v_add_co_u32 v65, vcc_lo, v62, s6
	v_add_co_ci_u32_e64 v66, null, s7, v63, vcc_lo
	global_load_ushort v65, v[65:66], off
	s_waitcnt vmcnt(0)
	v_lshl_or_b32 v11, v65, 16, v11
.LBB4_44:                               ;   in Loop: Header=BB4_34 Depth=1
	s_or_b32 exec_lo, exec_lo, s3
	v_add_co_u32 v65, vcc_lo, v52, s12
	v_add_co_ci_u32_e64 v66, null, s13, v53, vcc_lo
	v_cmp_gt_u64_e64 s3, s[10:11], v[65:66]
	v_cmp_le_u64_e32 vcc_lo, s[10:11], v[65:66]
	s_and_saveexec_b32 s4, vcc_lo
	s_xor_b32 s4, exec_lo, s4
	s_andn2_saveexec_b32 s5, s4
	s_cbranch_execz .LBB4_46
; %bb.45:                               ;   in Loop: Header=BB4_34 Depth=1
	v_add_co_u32 v65, s4, v40, s6
	v_add_co_ci_u32_e64 v66, null, s7, v41, s4
	v_add_co_u32 v67, s4, v42, s6
	v_add_co_ci_u32_e64 v68, null, s7, v43, s4
	global_load_ushort v65, v[65:66], off
	global_load_ushort v66, v[67:68], off
	s_waitcnt vmcnt(1)
	v_or_b32_e32 v8, v65, v8
	s_waitcnt vmcnt(0)
	v_or_b32_e32 v4, v66, v4
.LBB4_46:                               ;   in Loop: Header=BB4_34 Depth=1
	s_or_b32 exec_lo, exec_lo, s5
	s_and_saveexec_b32 s4, vcc_lo
	s_xor_b32 s4, exec_lo, s4
	s_andn2_saveexec_b32 s4, s4
	s_cbranch_execz .LBB4_48
; %bb.47:                               ;   in Loop: Header=BB4_34 Depth=1
	v_add_co_u32 v65, vcc_lo, v44, s6
	v_add_co_ci_u32_e64 v66, null, s7, v45, vcc_lo
	v_add_co_u32 v67, vcc_lo, v46, s6
	v_add_co_ci_u32_e64 v68, null, s7, v47, vcc_lo
	global_load_ushort v65, v[65:66], off
	global_load_ushort v66, v[67:68], off
	s_waitcnt vmcnt(1)
	v_or_b32_e32 v10, v65, v10
	s_waitcnt vmcnt(0)
	v_or_b32_e32 v6, v66, v6
.LBB4_48:                               ;   in Loop: Header=BB4_34 Depth=1
	s_or_b32 exec_lo, exec_lo, s4
	s_and_saveexec_b32 s4, s3
	s_cbranch_execz .LBB4_50
; %bb.49:                               ;   in Loop: Header=BB4_34 Depth=1
	v_add_co_u32 v65, vcc_lo, v49, s6
	v_add_co_ci_u32_e64 v66, null, s7, v50, vcc_lo
	global_load_ushort v65, v[65:66], off
	s_waitcnt vmcnt(0)
	v_or_b32_e32 v12, v65, v12
.LBB4_50:                               ;   in Loop: Header=BB4_34 Depth=1
	s_or_b32 exec_lo, exec_lo, s4
	v_add_co_u32 v65, vcc_lo, v1, s12
	v_add_co_ci_u32_e64 v66, null, s13, v39, vcc_lo
	v_cmp_gt_u64_e64 s4, s[10:11], v[65:66]
	s_and_saveexec_b32 s5, s4
	s_cbranch_execnz .LBB4_98
; %bb.51:                               ;   in Loop: Header=BB4_34 Depth=1
	s_or_b32 exec_lo, exec_lo, s5
	s_and_saveexec_b32 s5, s4
	s_cbranch_execnz .LBB4_99
.LBB4_52:                               ;   in Loop: Header=BB4_34 Depth=1
	s_or_b32 exec_lo, exec_lo, s5
	s_and_saveexec_b32 s5, s4
	s_cbranch_execnz .LBB4_100
.LBB4_53:                               ;   in Loop: Header=BB4_34 Depth=1
	s_or_b32 exec_lo, exec_lo, s5
	v_lshlrev_b32_e32 v65, 16, v3
	s_andn2_b32 vcc_lo, exec_lo, s20
	s_cbranch_vccnz .LBB4_55
.LBB4_54:                               ;   in Loop: Header=BB4_34 Depth=1
	global_load_dword v66, v2, s[16:17]
	s_waitcnt vmcnt(0)
	v_div_scale_f32 v67, null, v66, v66, v65
	v_rcp_f32_e32 v68, v67
	v_fma_f32 v69, -v67, v68, 1.0
	v_fmac_f32_e32 v68, v69, v68
	v_div_scale_f32 v69, vcc_lo, v65, v66, v65
	v_mul_f32_e32 v70, v69, v68
	v_fma_f32 v71, -v67, v70, v69
	v_fmac_f32_e32 v70, v71, v68
	v_fma_f32 v67, -v67, v70, v69
	v_div_fmas_f32 v67, v67, v68, v70
	v_div_fixup_f32 v65, v67, v66, v65
.LBB4_55:                               ;   in Loop: Header=BB4_34 Depth=1
	s_andn2_b32 vcc_lo, exec_lo, s20
	s_cbranch_vccnz .LBB4_57
; %bb.56:                               ;   in Loop: Header=BB4_34 Depth=1
	v_bfe_u32 v66, v65, 16, 1
	v_cmp_o_f32_e32 vcc_lo, v65, v65
	v_and_b32_e32 v3, 0xffff0000, v3
	v_add3_u32 v66, v65, v66, 0x7fff
	v_cndmask_b32_sdwa v66, v64, v66, vcc_lo dst_sel:DWORD dst_unused:UNUSED_PAD src0_sel:DWORD src1_sel:WORD_1
	v_or_b32_e32 v3, v66, v3
.LBB4_57:                               ;   in Loop: Header=BB4_34 Depth=1
	v_and_b32_e32 v67, 0xffff0000, v3
	s_andn2_b32 vcc_lo, exec_lo, s20
	s_cbranch_vccnz .LBB4_59
; %bb.58:                               ;   in Loop: Header=BB4_34 Depth=1
	global_load_dword v66, v2, s[16:17]
	s_waitcnt vmcnt(0)
	v_div_scale_f32 v68, null, v66, v66, v67
	v_rcp_f32_e32 v69, v68
	v_fma_f32 v70, -v68, v69, 1.0
	v_fmac_f32_e32 v69, v70, v69
	v_div_scale_f32 v70, vcc_lo, v67, v66, v67
	v_mul_f32_e32 v71, v70, v69
	v_fma_f32 v72, -v68, v71, v70
	v_fmac_f32_e32 v71, v72, v69
	v_fma_f32 v68, -v68, v71, v70
	v_div_fmas_f32 v68, v68, v69, v71
	v_div_fixup_f32 v67, v68, v66, v67
.LBB4_59:                               ;   in Loop: Header=BB4_34 Depth=1
	s_andn2_b32 vcc_lo, exec_lo, s20
	s_cbranch_vccnz .LBB4_61
; %bb.60:                               ;   in Loop: Header=BB4_34 Depth=1
	v_bfe_u32 v66, v67, 16, 1
	v_cmp_o_f32_e32 vcc_lo, v67, v67
	v_add3_u32 v66, v67, v66, 0x7fff
	v_and_b32_e32 v66, 0xffff0000, v66
	v_cndmask_b32_e32 v66, 0x7fc00000, v66, vcc_lo
	v_or_b32_sdwa v3, v66, v3 dst_sel:DWORD dst_unused:UNUSED_PAD src0_sel:DWORD src1_sel:WORD_0
.LBB4_61:                               ;   in Loop: Header=BB4_34 Depth=1
	v_alignbit_b32 v66, v4, v3, 16
	s_andn2_b32 vcc_lo, exec_lo, s20
	v_and_b32_e32 v72, 0xffff0000, v66
	s_cbranch_vccnz .LBB4_63
; %bb.62:                               ;   in Loop: Header=BB4_34 Depth=1
	global_load_dword v66, v2, s[16:17]
	s_waitcnt vmcnt(0)
	v_div_scale_f32 v68, null, v66, v66, v72
	v_rcp_f32_e32 v69, v68
	v_fma_f32 v70, -v68, v69, 1.0
	v_fmac_f32_e32 v69, v70, v69
	v_div_scale_f32 v70, vcc_lo, v72, v66, v72
	v_mul_f32_e32 v71, v70, v69
	v_fma_f32 v73, -v68, v71, v70
	v_fmac_f32_e32 v71, v73, v69
	v_fma_f32 v68, -v68, v71, v70
	v_div_fmas_f32 v68, v68, v69, v71
	v_div_fixup_f32 v72, v68, v66, v72
.LBB4_63:                               ;   in Loop: Header=BB4_34 Depth=1
	s_andn2_b32 vcc_lo, exec_lo, s20
	s_cbranch_vccnz .LBB4_65
; %bb.64:                               ;   in Loop: Header=BB4_34 Depth=1
	v_bfe_u32 v66, v72, 16, 1
	v_cmp_o_f32_e32 vcc_lo, v72, v72
	v_and_b32_e32 v4, 0xffff0000, v4
	v_add3_u32 v66, v72, v66, 0x7fff
	v_cndmask_b32_sdwa v66, v64, v66, vcc_lo dst_sel:DWORD dst_unused:UNUSED_PAD src0_sel:DWORD src1_sel:WORD_1
	v_or_b32_e32 v4, v66, v4
.LBB4_65:                               ;   in Loop: Header=BB4_34 Depth=1
	v_and_b32_e32 v71, 0xffff0000, v4
	s_andn2_b32 vcc_lo, exec_lo, s20
	s_cbranch_vccnz .LBB4_67
; %bb.66:                               ;   in Loop: Header=BB4_34 Depth=1
	global_load_dword v66, v2, s[16:17]
	s_waitcnt vmcnt(0)
	v_div_scale_f32 v68, null, v66, v66, v71
	v_rcp_f32_e32 v69, v68
	v_fma_f32 v70, -v68, v69, 1.0
	v_fmac_f32_e32 v69, v70, v69
	v_div_scale_f32 v70, vcc_lo, v71, v66, v71
	v_mul_f32_e32 v73, v70, v69
	v_fma_f32 v74, -v68, v73, v70
	v_fmac_f32_e32 v73, v74, v69
	v_fma_f32 v68, -v68, v73, v70
	v_div_fmas_f32 v68, v68, v69, v73
	v_div_fixup_f32 v71, v68, v66, v71
.LBB4_67:                               ;   in Loop: Header=BB4_34 Depth=1
	s_andn2_b32 vcc_lo, exec_lo, s20
	s_cbranch_vccnz .LBB4_69
; %bb.68:                               ;   in Loop: Header=BB4_34 Depth=1
	v_bfe_u32 v66, v71, 16, 1
	v_cmp_o_f32_e32 vcc_lo, v71, v71
	v_add3_u32 v66, v71, v66, 0x7fff
	v_and_b32_e32 v66, 0xffff0000, v66
	v_cndmask_b32_e32 v66, 0x7fc00000, v66, vcc_lo
	v_or_b32_sdwa v4, v66, v4 dst_sel:DWORD dst_unused:UNUSED_PAD src0_sel:DWORD src1_sel:WORD_0
.LBB4_69:                               ;   in Loop: Header=BB4_34 Depth=1
	v_lshlrev_b32_e32 v68, 16, v7
	v_cndmask_b32_e64 v65, v65, -v65, s33
	v_lshlrev_b32_e32 v70, 16, v5
	v_lshlrev_b32_e32 v73, 16, v11
	;; [unrolled: 1-line block ×3, first 2 shown]
	v_fma_f32 v66, v27, v68, v65
	v_cndmask_b32_e64 v65, v65, v66, s0
	v_mul_f32_e32 v66, v65, v65
	v_fma_f32 v69, -v26, v65, v65
	v_max_f32_e32 v65, v73, v73
	v_fma_f32 v66, -v25, v66, v66
	v_fmac_f32_e32 v69, v26, v74
	v_fmac_f32_e32 v66, v25, v70
	v_max_f32_e32 v65, v65, v66
	s_and_saveexec_b32 s18, s1
	s_cbranch_execz .LBB4_71
; %bb.70:                               ;   in Loop: Header=BB4_34 Depth=1
	v_mul_f32_e32 v70, 0x4f800000, v65
	v_cmp_gt_f32_e32 vcc_lo, 0xf800000, v65
	v_cndmask_b32_e32 v70, v65, v70, vcc_lo
	v_sqrt_f32_e32 v73, v70
	v_add_nc_u32_e32 v74, -1, v73
	v_add_nc_u32_e32 v75, 1, v73
	v_fma_f32 v76, -v74, v73, v70
	v_fma_f32 v77, -v75, v73, v70
	v_cmp_ge_f32_e64 s5, 0, v76
	v_cndmask_b32_e64 v73, v73, v74, s5
	v_cmp_lt_f32_e64 s5, 0, v77
	v_cndmask_b32_e64 v73, v73, v75, s5
	v_mul_f32_e32 v74, 0x37800000, v73
	v_cndmask_b32_e32 v73, v73, v74, vcc_lo
	v_cmp_class_f32_e64 vcc_lo, v70, 0x260
	v_cndmask_b32_e32 v70, v73, v70, vcc_lo
	v_div_scale_f32 v73, null, v29, v29, v70
	v_div_scale_f32 v76, vcc_lo, v70, v29, v70
	v_rcp_f32_e32 v74, v73
	v_fma_f32 v75, -v73, v74, 1.0
	v_fmac_f32_e32 v74, v75, v74
	v_mul_f32_e32 v75, v76, v74
	v_fma_f32 v77, -v73, v75, v76
	v_fmac_f32_e32 v75, v77, v74
	v_fma_f32 v73, -v73, v75, v76
	v_div_fmas_f32 v73, v73, v74, v75
	v_div_fixup_f32 v70, v73, v29, v70
	v_mul_f32_e32 v73, v21, v69
	v_add_f32_e32 v70, v70, v28
	v_div_scale_f32 v74, null, v70, v70, v73
	v_div_scale_f32 v77, vcc_lo, v73, v70, v73
	v_rcp_f32_e32 v75, v74
	v_fma_f32 v76, -v74, v75, 1.0
	v_fmac_f32_e32 v75, v76, v75
	v_mul_f32_e32 v76, v77, v75
	v_fma_f32 v78, -v74, v76, v77
	v_fmac_f32_e32 v76, v78, v75
	v_fma_f32 v74, -v74, v76, v77
	v_div_fmas_f32 v74, v74, v75, v76
	v_div_fixup_f32 v70, v74, v70, v73
	v_sub_f32_e32 v68, v68, v70
	v_bfe_u32 v70, v68, 16, 1
	v_cmp_o_f32_e32 vcc_lo, v68, v68
	v_add3_u32 v68, v68, v70, 0x7fff
	v_cndmask_b32_sdwa v68, v64, v68, vcc_lo dst_sel:DWORD dst_unused:UNUSED_PAD src0_sel:DWORD src1_sel:WORD_1
	v_add_co_u32 v73, vcc_lo, v13, s6
	v_add_co_ci_u32_e64 v74, null, s7, v14, vcc_lo
	global_store_short v[73:74], v68, off
.LBB4_71:                               ;   in Loop: Header=BB4_34 Depth=1
	s_or_b32 exec_lo, exec_lo, s18
	v_and_b32_e32 v73, 0xffff0000, v7
	v_cndmask_b32_e64 v67, v67, -v67, s33
	v_and_b32_e32 v74, 0xffff0000, v5
	v_and_b32_e32 v75, 0xffff0000, v11
	;; [unrolled: 1-line block ×3, first 2 shown]
	v_fma_f32 v68, v27, v73, v67
	v_cndmask_b32_e64 v67, v67, v68, s0
	v_mul_f32_e32 v68, v67, v67
	v_fma_f32 v70, -v26, v67, v67
	v_max_f32_e32 v67, v75, v75
	v_fma_f32 v68, -v25, v68, v68
	v_fmac_f32_e32 v70, v26, v76
	v_fmac_f32_e32 v68, v25, v74
	v_max_f32_e32 v67, v67, v68
	s_and_saveexec_b32 s18, s2
	s_cbranch_execz .LBB4_73
; %bb.72:                               ;   in Loop: Header=BB4_34 Depth=1
	v_mul_f32_e32 v74, 0x4f800000, v67
	v_cmp_gt_f32_e32 vcc_lo, 0xf800000, v67
	v_cndmask_b32_e32 v74, v67, v74, vcc_lo
	v_sqrt_f32_e32 v75, v74
	v_add_nc_u32_e32 v76, -1, v75
	v_add_nc_u32_e32 v77, 1, v75
	v_fma_f32 v78, -v76, v75, v74
	v_fma_f32 v79, -v77, v75, v74
	v_cmp_ge_f32_e64 s5, 0, v78
	v_cndmask_b32_e64 v75, v75, v76, s5
	v_cmp_lt_f32_e64 s5, 0, v79
	v_cndmask_b32_e64 v75, v75, v77, s5
	v_mul_f32_e32 v76, 0x37800000, v75
	v_cndmask_b32_e32 v75, v75, v76, vcc_lo
	v_cmp_class_f32_e64 vcc_lo, v74, 0x260
	v_cndmask_b32_e32 v74, v75, v74, vcc_lo
	v_div_scale_f32 v75, null, v29, v29, v74
	v_div_scale_f32 v78, vcc_lo, v74, v29, v74
	v_rcp_f32_e32 v76, v75
	v_fma_f32 v77, -v75, v76, 1.0
	v_fmac_f32_e32 v76, v77, v76
	v_mul_f32_e32 v77, v78, v76
	v_fma_f32 v79, -v75, v77, v78
	v_fmac_f32_e32 v77, v79, v76
	v_fma_f32 v75, -v75, v77, v78
	v_div_fmas_f32 v75, v75, v76, v77
	v_div_fixup_f32 v74, v75, v29, v74
	v_mul_f32_e32 v75, v21, v70
	v_add_f32_e32 v74, v74, v28
	v_div_scale_f32 v76, null, v74, v74, v75
	v_div_scale_f32 v79, vcc_lo, v75, v74, v75
	v_rcp_f32_e32 v77, v76
	v_fma_f32 v78, -v76, v77, 1.0
	v_fmac_f32_e32 v77, v78, v77
	v_mul_f32_e32 v78, v79, v77
	v_fma_f32 v80, -v76, v78, v79
	v_fmac_f32_e32 v78, v80, v77
	v_fma_f32 v76, -v76, v78, v79
	v_div_fmas_f32 v76, v76, v77, v78
	v_div_fixup_f32 v74, v76, v74, v75
	v_sub_f32_e32 v73, v73, v74
	v_bfe_u32 v74, v73, 16, 1
	v_cmp_o_f32_e32 vcc_lo, v73, v73
	v_add3_u32 v73, v73, v74, 0x7fff
	v_cndmask_b32_sdwa v75, v64, v73, vcc_lo dst_sel:DWORD dst_unused:UNUSED_PAD src0_sel:DWORD src1_sel:WORD_1
	v_add_co_u32 v73, vcc_lo, v54, s6
	v_add_co_ci_u32_e64 v74, null, s7, v55, vcc_lo
	global_store_short v[73:74], v75, off
.LBB4_73:                               ;   in Loop: Header=BB4_34 Depth=1
	s_or_b32 exec_lo, exec_lo, s18
	v_alignbit_b32 v7, v8, v7, 16
	v_cndmask_b32_e64 v73, v72, -v72, s33
	v_alignbit_b32 v5, v6, v5, 16
	v_alignbit_b32 v11, v12, v11, 16
	;; [unrolled: 1-line block ×3, first 2 shown]
	v_and_b32_e32 v72, 0xffff0000, v7
	v_and_b32_e32 v5, 0xffff0000, v5
	;; [unrolled: 1-line block ×4, first 2 shown]
	v_fma_f32 v7, v27, v72, v73
	v_cndmask_b32_e64 v73, v73, v7, s0
	v_mul_f32_e32 v7, v73, v73
	v_fma_f32 v9, -v26, v73, v73
	v_fma_f32 v7, -v25, v7, v7
	v_fmac_f32_e32 v9, v26, v74
	v_fmac_f32_e32 v7, v25, v5
	v_max_f32_e32 v5, v11, v11
	v_max_f32_e32 v5, v5, v7
	s_and_saveexec_b32 s18, s3
	s_cbranch_execz .LBB4_75
; %bb.74:                               ;   in Loop: Header=BB4_34 Depth=1
	v_mul_f32_e32 v11, 0x4f800000, v5
	v_cmp_gt_f32_e32 vcc_lo, 0xf800000, v5
	v_cndmask_b32_e32 v11, v5, v11, vcc_lo
	v_sqrt_f32_e32 v73, v11
	v_add_nc_u32_e32 v74, -1, v73
	v_add_nc_u32_e32 v75, 1, v73
	v_fma_f32 v76, -v74, v73, v11
	v_fma_f32 v77, -v75, v73, v11
	v_cmp_ge_f32_e64 s5, 0, v76
	v_cndmask_b32_e64 v73, v73, v74, s5
	v_cmp_lt_f32_e64 s5, 0, v77
	v_cndmask_b32_e64 v73, v73, v75, s5
	v_mul_f32_e32 v74, 0x37800000, v73
	v_cndmask_b32_e32 v73, v73, v74, vcc_lo
	v_cmp_class_f32_e64 vcc_lo, v11, 0x260
	v_cndmask_b32_e32 v11, v73, v11, vcc_lo
	v_div_scale_f32 v73, null, v29, v29, v11
	v_div_scale_f32 v76, vcc_lo, v11, v29, v11
	v_rcp_f32_e32 v74, v73
	v_fma_f32 v75, -v73, v74, 1.0
	v_fmac_f32_e32 v74, v75, v74
	v_mul_f32_e32 v75, v76, v74
	v_fma_f32 v77, -v73, v75, v76
	v_fmac_f32_e32 v75, v77, v74
	v_fma_f32 v73, -v73, v75, v76
	v_div_fmas_f32 v73, v73, v74, v75
	v_div_fixup_f32 v11, v73, v29, v11
	v_mul_f32_e32 v73, v21, v9
	v_add_f32_e32 v11, v11, v28
	v_div_scale_f32 v74, null, v11, v11, v73
	v_div_scale_f32 v77, vcc_lo, v73, v11, v73
	v_rcp_f32_e32 v75, v74
	v_fma_f32 v76, -v74, v75, 1.0
	v_fmac_f32_e32 v75, v76, v75
	v_mul_f32_e32 v76, v77, v75
	v_fma_f32 v78, -v74, v76, v77
	v_fmac_f32_e32 v76, v78, v75
	v_fma_f32 v74, -v74, v76, v77
	v_div_fmas_f32 v74, v74, v75, v76
	v_div_fixup_f32 v11, v74, v11, v73
	v_sub_f32_e32 v11, v72, v11
	v_bfe_u32 v72, v11, 16, 1
	v_cmp_o_f32_e32 vcc_lo, v11, v11
	v_add3_u32 v11, v11, v72, 0x7fff
	v_cndmask_b32_sdwa v11, v64, v11, vcc_lo dst_sel:DWORD dst_unused:UNUSED_PAD src0_sel:DWORD src1_sel:WORD_1
	v_add_co_u32 v72, vcc_lo, v40, s6
	v_add_co_ci_u32_e64 v73, null, s7, v41, vcc_lo
	global_store_short v[72:73], v11, off
.LBB4_75:                               ;   in Loop: Header=BB4_34 Depth=1
	s_or_b32 exec_lo, exec_lo, s18
	v_and_b32_e32 v11, 0xffff0000, v8
	v_cndmask_b32_e64 v8, v71, -v71, s33
	v_and_b32_e32 v6, 0xffff0000, v6
	v_and_b32_e32 v12, 0xffff0000, v12
	;; [unrolled: 1-line block ×3, first 2 shown]
	v_fma_f32 v71, v27, v11, v8
	v_cndmask_b32_e64 v71, v8, v71, s0
	v_mul_f32_e32 v8, v71, v71
	v_fma_f32 v10, -v26, v71, v71
	v_fma_f32 v8, -v25, v8, v8
	v_fmac_f32_e32 v10, v26, v72
	v_fmac_f32_e32 v8, v25, v6
	v_max_f32_e32 v6, v12, v12
	v_max_f32_e32 v6, v6, v8
	s_and_saveexec_b32 s18, s4
	s_cbranch_execz .LBB4_77
; %bb.76:                               ;   in Loop: Header=BB4_34 Depth=1
	v_mul_f32_e32 v12, 0x4f800000, v6
	v_cmp_gt_f32_e32 vcc_lo, 0xf800000, v6
	v_cndmask_b32_e32 v12, v6, v12, vcc_lo
	v_sqrt_f32_e32 v71, v12
	v_add_nc_u32_e32 v72, -1, v71
	v_add_nc_u32_e32 v73, 1, v71
	v_fma_f32 v74, -v72, v71, v12
	v_fma_f32 v75, -v73, v71, v12
	v_cmp_ge_f32_e64 s5, 0, v74
	v_cndmask_b32_e64 v71, v71, v72, s5
	v_cmp_lt_f32_e64 s5, 0, v75
	v_cndmask_b32_e64 v71, v71, v73, s5
	v_mul_f32_e32 v72, 0x37800000, v71
	v_cndmask_b32_e32 v71, v71, v72, vcc_lo
	v_cmp_class_f32_e64 vcc_lo, v12, 0x260
	v_cndmask_b32_e32 v12, v71, v12, vcc_lo
	v_div_scale_f32 v71, null, v29, v29, v12
	v_div_scale_f32 v74, vcc_lo, v12, v29, v12
	v_rcp_f32_e32 v72, v71
	v_fma_f32 v73, -v71, v72, 1.0
	v_fmac_f32_e32 v72, v73, v72
	v_mul_f32_e32 v73, v74, v72
	v_fma_f32 v75, -v71, v73, v74
	v_fmac_f32_e32 v73, v75, v72
	v_fma_f32 v71, -v71, v73, v74
	v_div_fmas_f32 v71, v71, v72, v73
	v_div_fixup_f32 v12, v71, v29, v12
	v_mul_f32_e32 v71, v21, v10
	v_add_f32_e32 v12, v12, v28
	v_div_scale_f32 v72, null, v12, v12, v71
	v_div_scale_f32 v75, vcc_lo, v71, v12, v71
	v_rcp_f32_e32 v73, v72
	v_fma_f32 v74, -v72, v73, 1.0
	v_fmac_f32_e32 v73, v74, v73
	v_mul_f32_e32 v74, v75, v73
	v_fma_f32 v76, -v72, v74, v75
	v_fmac_f32_e32 v74, v76, v73
	v_fma_f32 v72, -v72, v74, v75
	v_div_fmas_f32 v72, v72, v73, v74
	v_div_fixup_f32 v12, v72, v12, v71
	v_sub_f32_e32 v11, v11, v12
	v_bfe_u32 v12, v11, 16, 1
	v_cmp_o_f32_e32 vcc_lo, v11, v11
	v_add3_u32 v11, v11, v12, 0x7fff
	v_cndmask_b32_sdwa v71, v64, v11, vcc_lo dst_sel:DWORD dst_unused:UNUSED_PAD src0_sel:DWORD src1_sel:WORD_1
	v_add_co_u32 v11, vcc_lo, v24, s6
	v_add_co_ci_u32_e64 v12, null, s7, v30, vcc_lo
	global_store_short v[11:12], v71, off
.LBB4_77:                               ;   in Loop: Header=BB4_34 Depth=1
	s_or_b32 exec_lo, exec_lo, s18
	s_andn2_b32 vcc_lo, exec_lo, s20
	s_cbranch_vccnz .LBB4_84
; %bb.78:                               ;   in Loop: Header=BB4_34 Depth=1
	s_and_saveexec_b32 s5, s1
	s_cbranch_execnz .LBB4_113
; %bb.79:                               ;   in Loop: Header=BB4_34 Depth=1
	s_or_b32 exec_lo, exec_lo, s5
	s_and_saveexec_b32 s5, s2
	s_cbranch_execnz .LBB4_114
.LBB4_80:                               ;   in Loop: Header=BB4_34 Depth=1
	s_or_b32 exec_lo, exec_lo, s5
	s_and_saveexec_b32 s5, s3
	s_cbranch_execnz .LBB4_115
.LBB4_81:                               ;   in Loop: Header=BB4_34 Depth=1
	s_or_b32 exec_lo, exec_lo, s5
	s_and_saveexec_b32 s5, s4
	s_cbranch_execz .LBB4_83
.LBB4_82:                               ;   in Loop: Header=BB4_34 Depth=1
	v_add_co_u32 v11, vcc_lo, v31, s6
	v_add_co_ci_u32_e64 v12, null, s7, v32, vcc_lo
	global_store_short_d16_hi v[11:12], v4, off
.LBB4_83:                               ;   in Loop: Header=BB4_34 Depth=1
	s_or_b32 exec_lo, exec_lo, s5
.LBB4_84:                               ;   in Loop: Header=BB4_34 Depth=1
	s_and_saveexec_b32 s5, s1
	s_cbranch_execnz .LBB4_101
; %bb.85:                               ;   in Loop: Header=BB4_34 Depth=1
	s_or_b32 exec_lo, exec_lo, s5
	s_and_saveexec_b32 s5, s2
	s_cbranch_execnz .LBB4_102
.LBB4_86:                               ;   in Loop: Header=BB4_34 Depth=1
	s_or_b32 exec_lo, exec_lo, s5
	s_and_saveexec_b32 s5, s3
	s_cbranch_execnz .LBB4_103
.LBB4_87:                               ;   in Loop: Header=BB4_34 Depth=1
	s_or_b32 exec_lo, exec_lo, s5
	s_and_saveexec_b32 s5, s4
	s_cbranch_execnz .LBB4_104
.LBB4_88:                               ;   in Loop: Header=BB4_34 Depth=1
	s_or_b32 exec_lo, exec_lo, s5
	s_and_saveexec_b32 s5, s1
	s_cbranch_execnz .LBB4_105
.LBB4_89:                               ;   in Loop: Header=BB4_34 Depth=1
	s_or_b32 exec_lo, exec_lo, s5
	s_and_saveexec_b32 s5, s2
	s_cbranch_execnz .LBB4_106
.LBB4_90:                               ;   in Loop: Header=BB4_34 Depth=1
	s_or_b32 exec_lo, exec_lo, s5
	s_and_saveexec_b32 s5, s3
	s_cbranch_execnz .LBB4_107
.LBB4_91:                               ;   in Loop: Header=BB4_34 Depth=1
	s_or_b32 exec_lo, exec_lo, s5
	s_and_saveexec_b32 s5, s4
	s_cbranch_execnz .LBB4_108
.LBB4_92:                               ;   in Loop: Header=BB4_34 Depth=1
	s_or_b32 exec_lo, exec_lo, s5
	s_and_saveexec_b32 s5, s1
	s_cbranch_execnz .LBB4_109
.LBB4_93:                               ;   in Loop: Header=BB4_34 Depth=1
	s_or_b32 exec_lo, exec_lo, s5
	s_and_saveexec_b32 s1, s2
	s_cbranch_execnz .LBB4_110
.LBB4_94:                               ;   in Loop: Header=BB4_34 Depth=1
	s_or_b32 exec_lo, exec_lo, s1
	s_and_saveexec_b32 s1, s3
	s_cbranch_execnz .LBB4_111
.LBB4_95:                               ;   in Loop: Header=BB4_34 Depth=1
	s_or_b32 exec_lo, exec_lo, s1
	s_and_saveexec_b32 s1, s4
	s_cbranch_execz .LBB4_33
	s_branch .LBB4_112
.LBB4_96:                               ;   in Loop: Header=BB4_34 Depth=1
	v_add_co_u32 v65, vcc_lo, v54, s6
	v_add_co_ci_u32_e64 v66, null, s7, v55, vcc_lo
	v_add_co_u32 v67, vcc_lo, v56, s6
	v_add_co_ci_u32_e64 v68, null, s7, v57, vcc_lo
	global_load_ushort v65, v[65:66], off
	global_load_ushort v66, v[67:68], off
	s_waitcnt vmcnt(1)
	v_lshl_or_b32 v7, v65, 16, v7
	s_waitcnt vmcnt(0)
	v_lshl_or_b32 v3, v66, 16, v3
	s_or_b32 exec_lo, exec_lo, s3
	s_and_saveexec_b32 s3, s2
	s_cbranch_execz .LBB4_42
.LBB4_97:                               ;   in Loop: Header=BB4_34 Depth=1
	v_add_co_u32 v65, vcc_lo, v58, s6
	v_add_co_ci_u32_e64 v66, null, s7, v59, vcc_lo
	v_add_co_u32 v67, vcc_lo, v60, s6
	v_add_co_ci_u32_e64 v68, null, s7, v61, vcc_lo
	global_load_ushort v65, v[65:66], off
	global_load_ushort v66, v[67:68], off
	s_waitcnt vmcnt(1)
	v_lshl_or_b32 v9, v65, 16, v9
	s_waitcnt vmcnt(0)
	v_lshl_or_b32 v5, v66, 16, v5
	s_or_b32 exec_lo, exec_lo, s3
	s_and_saveexec_b32 s3, s2
	s_cbranch_execnz .LBB4_43
	s_branch .LBB4_44
.LBB4_98:                               ;   in Loop: Header=BB4_34 Depth=1
	v_add_co_u32 v65, vcc_lo, v24, s6
	v_add_co_ci_u32_e64 v66, null, s7, v30, vcc_lo
	v_add_co_u32 v67, vcc_lo, v31, s6
	v_mov_b32_e32 v69, 0
	v_add_co_ci_u32_e64 v68, null, s7, v32, vcc_lo
	v_mov_b32_e32 v70, 0
	global_load_short_d16_hi v69, v[65:66], off
	global_load_short_d16_hi v70, v[67:68], off
	v_add_co_u32 v3, vcc_lo, 0, v3
	s_waitcnt vmcnt(1)
	v_or_b32_e32 v8, v69, v8
	s_waitcnt vmcnt(0)
	v_add_co_ci_u32_e64 v4, null, v70, v4, vcc_lo
	s_or_b32 exec_lo, exec_lo, s5
	s_and_saveexec_b32 s5, s4
	s_cbranch_execz .LBB4_52
.LBB4_99:                               ;   in Loop: Header=BB4_34 Depth=1
	v_add_co_u32 v65, vcc_lo, v33, s6
	v_add_co_ci_u32_e64 v66, null, s7, v34, vcc_lo
	v_add_co_u32 v67, vcc_lo, v35, s6
	v_mov_b32_e32 v69, 0
	v_add_co_ci_u32_e64 v68, null, s7, v36, vcc_lo
	v_mov_b32_e32 v70, 0
	global_load_short_d16_hi v69, v[65:66], off
	global_load_short_d16_hi v70, v[67:68], off
	v_add_co_u32 v5, vcc_lo, 0, v5
	s_waitcnt vmcnt(1)
	v_or_b32_e32 v10, v69, v10
	s_waitcnt vmcnt(0)
	v_add_co_ci_u32_e64 v6, null, v70, v6, vcc_lo
	s_or_b32 exec_lo, exec_lo, s5
	s_and_saveexec_b32 s5, s4
	s_cbranch_execz .LBB4_53
.LBB4_100:                              ;   in Loop: Header=BB4_34 Depth=1
	v_add_co_u32 v65, vcc_lo, v37, s6
	v_add_co_ci_u32_e64 v66, null, s7, v38, vcc_lo
	v_mov_b32_e32 v67, 0
	global_load_short_d16_hi v67, v[65:66], off
	s_waitcnt vmcnt(0)
	v_or_b32_e32 v12, v67, v12
	s_or_b32 exec_lo, exec_lo, s5
	v_lshlrev_b32_e32 v65, 16, v3
	s_andn2_b32 vcc_lo, exec_lo, s20
	s_cbranch_vccz .LBB4_54
	s_branch .LBB4_55
.LBB4_101:                              ;   in Loop: Header=BB4_34 Depth=1
	v_bfe_u32 v3, v69, 16, 1
	v_cmp_o_f32_e32 vcc_lo, v69, v69
	v_add3_u32 v3, v69, v3, 0x7fff
	v_cndmask_b32_sdwa v11, v64, v3, vcc_lo dst_sel:DWORD dst_unused:UNUSED_PAD src0_sel:DWORD src1_sel:WORD_1
	v_add_co_u32 v3, vcc_lo, v17, s6
	v_add_co_ci_u32_e64 v4, null, s7, v18, vcc_lo
	global_store_short v[3:4], v11, off
	s_or_b32 exec_lo, exec_lo, s5
	s_and_saveexec_b32 s5, s2
	s_cbranch_execz .LBB4_86
.LBB4_102:                              ;   in Loop: Header=BB4_34 Depth=1
	v_bfe_u32 v3, v70, 16, 1
	v_cmp_o_f32_e32 vcc_lo, v70, v70
	v_add3_u32 v3, v70, v3, 0x7fff
	v_cndmask_b32_sdwa v11, v64, v3, vcc_lo dst_sel:DWORD dst_unused:UNUSED_PAD src0_sel:DWORD src1_sel:WORD_1
	v_add_co_u32 v3, vcc_lo, v58, s6
	v_add_co_ci_u32_e64 v4, null, s7, v59, vcc_lo
	global_store_short v[3:4], v11, off
	s_or_b32 exec_lo, exec_lo, s5
	s_and_saveexec_b32 s5, s3
	s_cbranch_execz .LBB4_87
.LBB4_103:                              ;   in Loop: Header=BB4_34 Depth=1
	v_bfe_u32 v3, v9, 16, 1
	v_cmp_o_f32_e32 vcc_lo, v9, v9
	v_add3_u32 v3, v9, v3, 0x7fff
	v_cndmask_b32_sdwa v9, v64, v3, vcc_lo dst_sel:DWORD dst_unused:UNUSED_PAD src0_sel:DWORD src1_sel:WORD_1
	v_add_co_u32 v3, vcc_lo, v44, s6
	v_add_co_ci_u32_e64 v4, null, s7, v45, vcc_lo
	global_store_short v[3:4], v9, off
	s_or_b32 exec_lo, exec_lo, s5
	s_and_saveexec_b32 s5, s4
	s_cbranch_execz .LBB4_88
.LBB4_104:                              ;   in Loop: Header=BB4_34 Depth=1
	v_bfe_u32 v3, v10, 16, 1
	v_cmp_o_f32_e32 vcc_lo, v10, v10
	v_add3_u32 v3, v10, v3, 0x7fff
	v_cndmask_b32_sdwa v9, v64, v3, vcc_lo dst_sel:DWORD dst_unused:UNUSED_PAD src0_sel:DWORD src1_sel:WORD_1
	v_add_co_u32 v3, vcc_lo, v33, s6
	v_add_co_ci_u32_e64 v4, null, s7, v34, vcc_lo
	global_store_short v[3:4], v9, off
	s_or_b32 exec_lo, exec_lo, s5
	s_and_saveexec_b32 s5, s1
	s_cbranch_execz .LBB4_89
.LBB4_105:                              ;   in Loop: Header=BB4_34 Depth=1
	v_bfe_u32 v3, v66, 16, 1
	v_cmp_o_f32_e32 vcc_lo, v66, v66
	v_add3_u32 v3, v66, v3, 0x7fff
	v_cndmask_b32_sdwa v9, v64, v3, vcc_lo dst_sel:DWORD dst_unused:UNUSED_PAD src0_sel:DWORD src1_sel:WORD_1
	v_add_co_u32 v3, vcc_lo, v19, s6
	v_add_co_ci_u32_e64 v4, null, s7, v20, vcc_lo
	global_store_short v[3:4], v9, off
	s_or_b32 exec_lo, exec_lo, s5
	s_and_saveexec_b32 s5, s2
	s_cbranch_execz .LBB4_90
.LBB4_106:                              ;   in Loop: Header=BB4_34 Depth=1
	v_bfe_u32 v3, v68, 16, 1
	v_cmp_o_f32_e32 vcc_lo, v68, v68
	v_add3_u32 v3, v68, v3, 0x7fff
	v_cndmask_b32_sdwa v9, v64, v3, vcc_lo dst_sel:DWORD dst_unused:UNUSED_PAD src0_sel:DWORD src1_sel:WORD_1
	v_add_co_u32 v3, vcc_lo, v60, s6
	v_add_co_ci_u32_e64 v4, null, s7, v61, vcc_lo
	global_store_short v[3:4], v9, off
	s_or_b32 exec_lo, exec_lo, s5
	s_and_saveexec_b32 s5, s3
	s_cbranch_execz .LBB4_91
.LBB4_107:                              ;   in Loop: Header=BB4_34 Depth=1
	v_bfe_u32 v3, v7, 16, 1
	v_cmp_o_f32_e32 vcc_lo, v7, v7
	v_add3_u32 v3, v7, v3, 0x7fff
	v_cndmask_b32_sdwa v7, v64, v3, vcc_lo dst_sel:DWORD dst_unused:UNUSED_PAD src0_sel:DWORD src1_sel:WORD_1
	v_add_co_u32 v3, vcc_lo, v46, s6
	v_add_co_ci_u32_e64 v4, null, s7, v47, vcc_lo
	global_store_short v[3:4], v7, off
	s_or_b32 exec_lo, exec_lo, s5
	s_and_saveexec_b32 s5, s4
	s_cbranch_execz .LBB4_92
.LBB4_108:                              ;   in Loop: Header=BB4_34 Depth=1
	v_bfe_u32 v3, v8, 16, 1
	v_cmp_o_f32_e32 vcc_lo, v8, v8
	v_add3_u32 v3, v8, v3, 0x7fff
	v_cndmask_b32_sdwa v7, v64, v3, vcc_lo dst_sel:DWORD dst_unused:UNUSED_PAD src0_sel:DWORD src1_sel:WORD_1
	v_add_co_u32 v3, vcc_lo, v35, s6
	v_add_co_ci_u32_e64 v4, null, s7, v36, vcc_lo
	global_store_short v[3:4], v7, off
	s_or_b32 exec_lo, exec_lo, s5
	s_and_saveexec_b32 s5, s1
	s_cbranch_execz .LBB4_93
.LBB4_109:                              ;   in Loop: Header=BB4_34 Depth=1
	v_bfe_u32 v3, v65, 16, 1
	v_cmp_o_f32_e32 vcc_lo, v65, v65
	v_add3_u32 v3, v65, v3, 0x7fff
	v_cndmask_b32_sdwa v7, v64, v3, vcc_lo dst_sel:DWORD dst_unused:UNUSED_PAD src0_sel:DWORD src1_sel:WORD_1
	v_add_co_u32 v3, vcc_lo, v22, s6
	v_add_co_ci_u32_e64 v4, null, s7, v23, vcc_lo
	global_store_short v[3:4], v7, off
	s_or_b32 exec_lo, exec_lo, s5
	s_and_saveexec_b32 s1, s2
	s_cbranch_execz .LBB4_94
.LBB4_110:                              ;   in Loop: Header=BB4_34 Depth=1
	v_bfe_u32 v3, v67, 16, 1
	v_cmp_o_f32_e32 vcc_lo, v67, v67
	v_add3_u32 v3, v67, v3, 0x7fff
	v_cndmask_b32_sdwa v7, v64, v3, vcc_lo dst_sel:DWORD dst_unused:UNUSED_PAD src0_sel:DWORD src1_sel:WORD_1
	v_add_co_u32 v3, vcc_lo, v62, s6
	v_add_co_ci_u32_e64 v4, null, s7, v63, vcc_lo
	global_store_short v[3:4], v7, off
	s_or_b32 exec_lo, exec_lo, s1
	s_and_saveexec_b32 s1, s3
	s_cbranch_execz .LBB4_95
.LBB4_111:                              ;   in Loop: Header=BB4_34 Depth=1
	v_bfe_u32 v3, v5, 16, 1
	v_cmp_o_f32_e32 vcc_lo, v5, v5
	v_add3_u32 v3, v5, v3, 0x7fff
	v_cndmask_b32_sdwa v5, v64, v3, vcc_lo dst_sel:DWORD dst_unused:UNUSED_PAD src0_sel:DWORD src1_sel:WORD_1
	v_add_co_u32 v3, vcc_lo, v49, s6
	v_add_co_ci_u32_e64 v4, null, s7, v50, vcc_lo
	global_store_short v[3:4], v5, off
	s_or_b32 exec_lo, exec_lo, s1
	s_and_saveexec_b32 s1, s4
	s_cbranch_execz .LBB4_33
.LBB4_112:                              ;   in Loop: Header=BB4_34 Depth=1
	v_bfe_u32 v3, v6, 16, 1
	v_cmp_o_f32_e32 vcc_lo, v6, v6
	v_add3_u32 v3, v6, v3, 0x7fff
	v_cndmask_b32_sdwa v5, v64, v3, vcc_lo dst_sel:DWORD dst_unused:UNUSED_PAD src0_sel:DWORD src1_sel:WORD_1
	v_add_co_u32 v3, vcc_lo, v37, s6
	v_add_co_ci_u32_e64 v4, null, s7, v38, vcc_lo
	global_store_short v[3:4], v5, off
	s_branch .LBB4_33
.LBB4_113:                              ;   in Loop: Header=BB4_34 Depth=1
	v_add_co_u32 v11, vcc_lo, v15, s6
	v_add_co_ci_u32_e64 v12, null, s7, v16, vcc_lo
	global_store_short v[11:12], v3, off
	s_or_b32 exec_lo, exec_lo, s5
	s_and_saveexec_b32 s5, s2
	s_cbranch_execz .LBB4_80
.LBB4_114:                              ;   in Loop: Header=BB4_34 Depth=1
	v_add_co_u32 v11, vcc_lo, v56, s6
	v_add_co_ci_u32_e64 v12, null, s7, v57, vcc_lo
	global_store_short_d16_hi v[11:12], v3, off
	s_or_b32 exec_lo, exec_lo, s5
	s_and_saveexec_b32 s5, s3
	s_cbranch_execz .LBB4_81
.LBB4_115:                              ;   in Loop: Header=BB4_34 Depth=1
	v_add_co_u32 v11, vcc_lo, v42, s6
	v_add_co_ci_u32_e64 v12, null, s7, v43, vcc_lo
	global_store_short v[11:12], v4, off
	s_or_b32 exec_lo, exec_lo, s5
	s_and_saveexec_b32 s5, s4
	s_cbranch_execnz .LBB4_82
	s_branch .LBB4_83
.LBB4_116:
	s_endpgm
	.section	.rodata,"a",@progbits
	.p2align	6, 0x0
	.amdhsa_kernel _ZN2at6native12_GLOBAL__N_125multi_tensor_apply_kernelINS1_32FusedOptimizerTensorListMetadataILi5EEENS1_20FusedAdamMathFunctorIN3c108BFloat16ELi5ELNS0_9ADAM_MODEE0ELb1EEEJPKfdddddbSB_SB_EEEvT_T0_DpT1_
		.amdhsa_group_segment_fixed_size 0
		.amdhsa_private_segment_fixed_size 0
		.amdhsa_kernarg_size 3624
		.amdhsa_user_sgpr_count 6
		.amdhsa_user_sgpr_private_segment_buffer 1
		.amdhsa_user_sgpr_dispatch_ptr 0
		.amdhsa_user_sgpr_queue_ptr 0
		.amdhsa_user_sgpr_kernarg_segment_ptr 1
		.amdhsa_user_sgpr_dispatch_id 0
		.amdhsa_user_sgpr_flat_scratch_init 0
		.amdhsa_user_sgpr_private_segment_size 0
		.amdhsa_wavefront_size32 1
		.amdhsa_uses_dynamic_stack 0
		.amdhsa_system_sgpr_private_segment_wavefront_offset 0
		.amdhsa_system_sgpr_workgroup_id_x 1
		.amdhsa_system_sgpr_workgroup_id_y 0
		.amdhsa_system_sgpr_workgroup_id_z 0
		.amdhsa_system_sgpr_workgroup_info 0
		.amdhsa_system_vgpr_workitem_id 0
		.amdhsa_next_free_vgpr 81
		.amdhsa_next_free_sgpr 39
		.amdhsa_reserve_vcc 1
		.amdhsa_reserve_flat_scratch 0
		.amdhsa_float_round_mode_32 0
		.amdhsa_float_round_mode_16_64 0
		.amdhsa_float_denorm_mode_32 3
		.amdhsa_float_denorm_mode_16_64 3
		.amdhsa_dx10_clamp 1
		.amdhsa_ieee_mode 1
		.amdhsa_fp16_overflow 0
		.amdhsa_workgroup_processor_mode 1
		.amdhsa_memory_ordered 1
		.amdhsa_forward_progress 1
		.amdhsa_shared_vgpr_count 0
		.amdhsa_exception_fp_ieee_invalid_op 0
		.amdhsa_exception_fp_denorm_src 0
		.amdhsa_exception_fp_ieee_div_zero 0
		.amdhsa_exception_fp_ieee_overflow 0
		.amdhsa_exception_fp_ieee_underflow 0
		.amdhsa_exception_fp_ieee_inexact 0
		.amdhsa_exception_int_div_zero 0
	.end_amdhsa_kernel
	.section	.text._ZN2at6native12_GLOBAL__N_125multi_tensor_apply_kernelINS1_32FusedOptimizerTensorListMetadataILi5EEENS1_20FusedAdamMathFunctorIN3c108BFloat16ELi5ELNS0_9ADAM_MODEE0ELb1EEEJPKfdddddbSB_SB_EEEvT_T0_DpT1_,"axG",@progbits,_ZN2at6native12_GLOBAL__N_125multi_tensor_apply_kernelINS1_32FusedOptimizerTensorListMetadataILi5EEENS1_20FusedAdamMathFunctorIN3c108BFloat16ELi5ELNS0_9ADAM_MODEE0ELb1EEEJPKfdddddbSB_SB_EEEvT_T0_DpT1_,comdat
.Lfunc_end4:
	.size	_ZN2at6native12_GLOBAL__N_125multi_tensor_apply_kernelINS1_32FusedOptimizerTensorListMetadataILi5EEENS1_20FusedAdamMathFunctorIN3c108BFloat16ELi5ELNS0_9ADAM_MODEE0ELb1EEEJPKfdddddbSB_SB_EEEvT_T0_DpT1_, .Lfunc_end4-_ZN2at6native12_GLOBAL__N_125multi_tensor_apply_kernelINS1_32FusedOptimizerTensorListMetadataILi5EEENS1_20FusedAdamMathFunctorIN3c108BFloat16ELi5ELNS0_9ADAM_MODEE0ELb1EEEJPKfdddddbSB_SB_EEEvT_T0_DpT1_
                                        ; -- End function
	.set _ZN2at6native12_GLOBAL__N_125multi_tensor_apply_kernelINS1_32FusedOptimizerTensorListMetadataILi5EEENS1_20FusedAdamMathFunctorIN3c108BFloat16ELi5ELNS0_9ADAM_MODEE0ELb1EEEJPKfdddddbSB_SB_EEEvT_T0_DpT1_.num_vgpr, 81
	.set _ZN2at6native12_GLOBAL__N_125multi_tensor_apply_kernelINS1_32FusedOptimizerTensorListMetadataILi5EEENS1_20FusedAdamMathFunctorIN3c108BFloat16ELi5ELNS0_9ADAM_MODEE0ELb1EEEJPKfdddddbSB_SB_EEEvT_T0_DpT1_.num_agpr, 0
	.set _ZN2at6native12_GLOBAL__N_125multi_tensor_apply_kernelINS1_32FusedOptimizerTensorListMetadataILi5EEENS1_20FusedAdamMathFunctorIN3c108BFloat16ELi5ELNS0_9ADAM_MODEE0ELb1EEEJPKfdddddbSB_SB_EEEvT_T0_DpT1_.numbered_sgpr, 39
	.set _ZN2at6native12_GLOBAL__N_125multi_tensor_apply_kernelINS1_32FusedOptimizerTensorListMetadataILi5EEENS1_20FusedAdamMathFunctorIN3c108BFloat16ELi5ELNS0_9ADAM_MODEE0ELb1EEEJPKfdddddbSB_SB_EEEvT_T0_DpT1_.num_named_barrier, 0
	.set _ZN2at6native12_GLOBAL__N_125multi_tensor_apply_kernelINS1_32FusedOptimizerTensorListMetadataILi5EEENS1_20FusedAdamMathFunctorIN3c108BFloat16ELi5ELNS0_9ADAM_MODEE0ELb1EEEJPKfdddddbSB_SB_EEEvT_T0_DpT1_.private_seg_size, 0
	.set _ZN2at6native12_GLOBAL__N_125multi_tensor_apply_kernelINS1_32FusedOptimizerTensorListMetadataILi5EEENS1_20FusedAdamMathFunctorIN3c108BFloat16ELi5ELNS0_9ADAM_MODEE0ELb1EEEJPKfdddddbSB_SB_EEEvT_T0_DpT1_.uses_vcc, 1
	.set _ZN2at6native12_GLOBAL__N_125multi_tensor_apply_kernelINS1_32FusedOptimizerTensorListMetadataILi5EEENS1_20FusedAdamMathFunctorIN3c108BFloat16ELi5ELNS0_9ADAM_MODEE0ELb1EEEJPKfdddddbSB_SB_EEEvT_T0_DpT1_.uses_flat_scratch, 0
	.set _ZN2at6native12_GLOBAL__N_125multi_tensor_apply_kernelINS1_32FusedOptimizerTensorListMetadataILi5EEENS1_20FusedAdamMathFunctorIN3c108BFloat16ELi5ELNS0_9ADAM_MODEE0ELb1EEEJPKfdddddbSB_SB_EEEvT_T0_DpT1_.has_dyn_sized_stack, 0
	.set _ZN2at6native12_GLOBAL__N_125multi_tensor_apply_kernelINS1_32FusedOptimizerTensorListMetadataILi5EEENS1_20FusedAdamMathFunctorIN3c108BFloat16ELi5ELNS0_9ADAM_MODEE0ELb1EEEJPKfdddddbSB_SB_EEEvT_T0_DpT1_.has_recursion, 0
	.set _ZN2at6native12_GLOBAL__N_125multi_tensor_apply_kernelINS1_32FusedOptimizerTensorListMetadataILi5EEENS1_20FusedAdamMathFunctorIN3c108BFloat16ELi5ELNS0_9ADAM_MODEE0ELb1EEEJPKfdddddbSB_SB_EEEvT_T0_DpT1_.has_indirect_call, 0
	.section	.AMDGPU.csdata,"",@progbits
; Kernel info:
; codeLenInByte = 11276
; TotalNumSgprs: 41
; NumVgprs: 81
; ScratchSize: 0
; MemoryBound: 0
; FloatMode: 240
; IeeeMode: 1
; LDSByteSize: 0 bytes/workgroup (compile time only)
; SGPRBlocks: 0
; VGPRBlocks: 10
; NumSGPRsForWavesPerEU: 41
; NumVGPRsForWavesPerEU: 81
; Occupancy: 10
; WaveLimiterHint : 0
; COMPUTE_PGM_RSRC2:SCRATCH_EN: 0
; COMPUTE_PGM_RSRC2:USER_SGPR: 6
; COMPUTE_PGM_RSRC2:TRAP_HANDLER: 0
; COMPUTE_PGM_RSRC2:TGID_X_EN: 1
; COMPUTE_PGM_RSRC2:TGID_Y_EN: 0
; COMPUTE_PGM_RSRC2:TGID_Z_EN: 0
; COMPUTE_PGM_RSRC2:TIDIG_COMP_CNT: 0
	.section	.AMDGPU.gpr_maximums,"",@progbits
	.set amdgpu.max_num_vgpr, 0
	.set amdgpu.max_num_agpr, 0
	.set amdgpu.max_num_sgpr, 0
	.section	.AMDGPU.csdata,"",@progbits
	.type	__hip_cuid_baa5dc40821e77ed,@object ; @__hip_cuid_baa5dc40821e77ed
	.section	.bss,"aw",@nobits
	.globl	__hip_cuid_baa5dc40821e77ed
__hip_cuid_baa5dc40821e77ed:
	.byte	0                               ; 0x0
	.size	__hip_cuid_baa5dc40821e77ed, 1

	.ident	"AMD clang version 22.0.0git (https://github.com/RadeonOpenCompute/llvm-project roc-7.2.4 26084 f58b06dce1f9c15707c5f808fd002e18c2accf7e)"
	.section	".note.GNU-stack","",@progbits
	.addrsig
	.addrsig_sym __hip_cuid_baa5dc40821e77ed
	.amdgpu_metadata
---
amdhsa.kernels:
  - .args:
      - .offset:         0
        .size:           3288
        .value_kind:     by_value
      - .offset:         3288
        .size:           1
        .value_kind:     by_value
      - .address_space:  global
        .offset:         3296
        .size:           8
        .value_kind:     global_buffer
      - .offset:         3304
        .size:           8
        .value_kind:     by_value
      - .offset:         3312
        .size:           8
        .value_kind:     by_value
      - .offset:         3320
        .size:           8
        .value_kind:     by_value
      - .offset:         3328
        .size:           8
        .value_kind:     by_value
      - .offset:         3336
        .size:           8
        .value_kind:     by_value
      - .offset:         3344
        .size:           1
        .value_kind:     by_value
      - .address_space:  global
        .offset:         3352
        .size:           8
        .value_kind:     global_buffer
      - .address_space:  global
        .offset:         3360
        .size:           8
        .value_kind:     global_buffer
      - .offset:         3368
        .size:           4
        .value_kind:     hidden_block_count_x
      - .offset:         3372
        .size:           4
        .value_kind:     hidden_block_count_y
      - .offset:         3376
        .size:           4
        .value_kind:     hidden_block_count_z
      - .offset:         3380
        .size:           2
        .value_kind:     hidden_group_size_x
      - .offset:         3382
        .size:           2
        .value_kind:     hidden_group_size_y
      - .offset:         3384
        .size:           2
        .value_kind:     hidden_group_size_z
      - .offset:         3386
        .size:           2
        .value_kind:     hidden_remainder_x
      - .offset:         3388
        .size:           2
        .value_kind:     hidden_remainder_y
      - .offset:         3390
        .size:           2
        .value_kind:     hidden_remainder_z
      - .offset:         3408
        .size:           8
        .value_kind:     hidden_global_offset_x
      - .offset:         3416
        .size:           8
        .value_kind:     hidden_global_offset_y
      - .offset:         3424
        .size:           8
        .value_kind:     hidden_global_offset_z
      - .offset:         3432
        .size:           2
        .value_kind:     hidden_grid_dims
    .group_segment_fixed_size: 0
    .kernarg_segment_align: 8
    .kernarg_segment_size: 3624
    .language:       OpenCL C
    .language_version:
      - 2
      - 0
    .max_flat_workgroup_size: 512
    .name:           _ZN2at6native12_GLOBAL__N_125multi_tensor_apply_kernelINS1_32FusedOptimizerTensorListMetadataILi5EEENS1_22FusedAdamMathFunctorMPIfffN3c108BFloat16ES7_S7_Li5ELNS0_9ADAM_MODEE0ELb1EEEJPKfdddddbSB_SB_EEEvT_T0_DpT1_
    .private_segment_fixed_size: 0
    .sgpr_count:     85
    .sgpr_spill_count: 0
    .symbol:         _ZN2at6native12_GLOBAL__N_125multi_tensor_apply_kernelINS1_32FusedOptimizerTensorListMetadataILi5EEENS1_22FusedAdamMathFunctorMPIfffN3c108BFloat16ES7_S7_Li5ELNS0_9ADAM_MODEE0ELb1EEEJPKfdddddbSB_SB_EEEvT_T0_DpT1_.kd
    .uniform_work_group_size: 1
    .uses_dynamic_stack: false
    .vgpr_count:     50
    .vgpr_spill_count: 0
    .wavefront_size: 32
    .workgroup_processor_mode: 1
  - .args:
      - .offset:         0
        .size:           3288
        .value_kind:     by_value
      - .offset:         3288
        .size:           1
        .value_kind:     by_value
      - .address_space:  global
        .offset:         3296
        .size:           8
        .value_kind:     global_buffer
      - .offset:         3304
        .size:           8
        .value_kind:     by_value
      - .offset:         3312
        .size:           8
        .value_kind:     by_value
      - .offset:         3320
        .size:           8
        .value_kind:     by_value
      - .offset:         3328
        .size:           8
        .value_kind:     by_value
      - .offset:         3336
        .size:           8
        .value_kind:     by_value
      - .offset:         3344
        .size:           1
        .value_kind:     by_value
      - .address_space:  global
        .offset:         3352
        .size:           8
        .value_kind:     global_buffer
      - .address_space:  global
        .offset:         3360
        .size:           8
        .value_kind:     global_buffer
      - .offset:         3368
        .size:           4
        .value_kind:     hidden_block_count_x
      - .offset:         3372
        .size:           4
        .value_kind:     hidden_block_count_y
      - .offset:         3376
        .size:           4
        .value_kind:     hidden_block_count_z
      - .offset:         3380
        .size:           2
        .value_kind:     hidden_group_size_x
      - .offset:         3382
        .size:           2
        .value_kind:     hidden_group_size_y
      - .offset:         3384
        .size:           2
        .value_kind:     hidden_group_size_z
      - .offset:         3386
        .size:           2
        .value_kind:     hidden_remainder_x
      - .offset:         3388
        .size:           2
        .value_kind:     hidden_remainder_y
      - .offset:         3390
        .size:           2
        .value_kind:     hidden_remainder_z
      - .offset:         3408
        .size:           8
        .value_kind:     hidden_global_offset_x
      - .offset:         3416
        .size:           8
        .value_kind:     hidden_global_offset_y
      - .offset:         3424
        .size:           8
        .value_kind:     hidden_global_offset_z
      - .offset:         3432
        .size:           2
        .value_kind:     hidden_grid_dims
    .group_segment_fixed_size: 0
    .kernarg_segment_align: 8
    .kernarg_segment_size: 3624
    .language:       OpenCL C
    .language_version:
      - 2
      - 0
    .max_flat_workgroup_size: 512
    .name:           _ZN2at6native12_GLOBAL__N_125multi_tensor_apply_kernelINS1_32FusedOptimizerTensorListMetadataILi5EEENS1_20FusedAdamMathFunctorIdLi5ELNS0_9ADAM_MODEE0ELb1EEEJPKfdddddbS9_S9_EEEvT_T0_DpT1_
    .private_segment_fixed_size: 0
    .sgpr_count:     81
    .sgpr_spill_count: 0
    .symbol:         _ZN2at6native12_GLOBAL__N_125multi_tensor_apply_kernelINS1_32FusedOptimizerTensorListMetadataILi5EEENS1_20FusedAdamMathFunctorIdLi5ELNS0_9ADAM_MODEE0ELb1EEEJPKfdddddbS9_S9_EEEvT_T0_DpT1_.kd
    .uniform_work_group_size: 1
    .uses_dynamic_stack: false
    .vgpr_count:     104
    .vgpr_spill_count: 0
    .wavefront_size: 32
    .workgroup_processor_mode: 1
  - .args:
      - .offset:         0
        .size:           3288
        .value_kind:     by_value
      - .offset:         3288
        .size:           1
        .value_kind:     by_value
      - .address_space:  global
        .offset:         3296
        .size:           8
        .value_kind:     global_buffer
      - .offset:         3304
        .size:           8
        .value_kind:     by_value
      - .offset:         3312
        .size:           8
        .value_kind:     by_value
      - .offset:         3320
        .size:           8
        .value_kind:     by_value
      - .offset:         3328
        .size:           8
        .value_kind:     by_value
      - .offset:         3336
        .size:           8
        .value_kind:     by_value
      - .offset:         3344
        .size:           1
        .value_kind:     by_value
      - .address_space:  global
        .offset:         3352
        .size:           8
        .value_kind:     global_buffer
      - .address_space:  global
        .offset:         3360
        .size:           8
        .value_kind:     global_buffer
      - .offset:         3368
        .size:           4
        .value_kind:     hidden_block_count_x
      - .offset:         3372
        .size:           4
        .value_kind:     hidden_block_count_y
      - .offset:         3376
        .size:           4
        .value_kind:     hidden_block_count_z
      - .offset:         3380
        .size:           2
        .value_kind:     hidden_group_size_x
      - .offset:         3382
        .size:           2
        .value_kind:     hidden_group_size_y
      - .offset:         3384
        .size:           2
        .value_kind:     hidden_group_size_z
      - .offset:         3386
        .size:           2
        .value_kind:     hidden_remainder_x
      - .offset:         3388
        .size:           2
        .value_kind:     hidden_remainder_y
      - .offset:         3390
        .size:           2
        .value_kind:     hidden_remainder_z
      - .offset:         3408
        .size:           8
        .value_kind:     hidden_global_offset_x
      - .offset:         3416
        .size:           8
        .value_kind:     hidden_global_offset_y
      - .offset:         3424
        .size:           8
        .value_kind:     hidden_global_offset_z
      - .offset:         3432
        .size:           2
        .value_kind:     hidden_grid_dims
    .group_segment_fixed_size: 0
    .kernarg_segment_align: 8
    .kernarg_segment_size: 3624
    .language:       OpenCL C
    .language_version:
      - 2
      - 0
    .max_flat_workgroup_size: 512
    .name:           _ZN2at6native12_GLOBAL__N_125multi_tensor_apply_kernelINS1_32FusedOptimizerTensorListMetadataILi5EEENS1_20FusedAdamMathFunctorIfLi5ELNS0_9ADAM_MODEE0ELb1EEEJPKfdddddbS9_S9_EEEvT_T0_DpT1_
    .private_segment_fixed_size: 0
    .sgpr_count:     43
    .sgpr_spill_count: 0
    .symbol:         _ZN2at6native12_GLOBAL__N_125multi_tensor_apply_kernelINS1_32FusedOptimizerTensorListMetadataILi5EEENS1_20FusedAdamMathFunctorIfLi5ELNS0_9ADAM_MODEE0ELb1EEEJPKfdddddbS9_S9_EEEvT_T0_DpT1_.kd
    .uniform_work_group_size: 1
    .uses_dynamic_stack: false
    .vgpr_count:     81
    .vgpr_spill_count: 0
    .wavefront_size: 32
    .workgroup_processor_mode: 1
  - .args:
      - .offset:         0
        .size:           3288
        .value_kind:     by_value
      - .offset:         3288
        .size:           1
        .value_kind:     by_value
      - .address_space:  global
        .offset:         3296
        .size:           8
        .value_kind:     global_buffer
      - .offset:         3304
        .size:           8
        .value_kind:     by_value
      - .offset:         3312
        .size:           8
        .value_kind:     by_value
      - .offset:         3320
        .size:           8
        .value_kind:     by_value
      - .offset:         3328
        .size:           8
        .value_kind:     by_value
      - .offset:         3336
        .size:           8
        .value_kind:     by_value
      - .offset:         3344
        .size:           1
        .value_kind:     by_value
      - .address_space:  global
        .offset:         3352
        .size:           8
        .value_kind:     global_buffer
      - .address_space:  global
        .offset:         3360
        .size:           8
        .value_kind:     global_buffer
      - .offset:         3368
        .size:           4
        .value_kind:     hidden_block_count_x
      - .offset:         3372
        .size:           4
        .value_kind:     hidden_block_count_y
      - .offset:         3376
        .size:           4
        .value_kind:     hidden_block_count_z
      - .offset:         3380
        .size:           2
        .value_kind:     hidden_group_size_x
      - .offset:         3382
        .size:           2
        .value_kind:     hidden_group_size_y
      - .offset:         3384
        .size:           2
        .value_kind:     hidden_group_size_z
      - .offset:         3386
        .size:           2
        .value_kind:     hidden_remainder_x
      - .offset:         3388
        .size:           2
        .value_kind:     hidden_remainder_y
      - .offset:         3390
        .size:           2
        .value_kind:     hidden_remainder_z
      - .offset:         3408
        .size:           8
        .value_kind:     hidden_global_offset_x
      - .offset:         3416
        .size:           8
        .value_kind:     hidden_global_offset_y
      - .offset:         3424
        .size:           8
        .value_kind:     hidden_global_offset_z
      - .offset:         3432
        .size:           2
        .value_kind:     hidden_grid_dims
    .group_segment_fixed_size: 0
    .kernarg_segment_align: 8
    .kernarg_segment_size: 3624
    .language:       OpenCL C
    .language_version:
      - 2
      - 0
    .max_flat_workgroup_size: 512
    .name:           _ZN2at6native12_GLOBAL__N_125multi_tensor_apply_kernelINS1_32FusedOptimizerTensorListMetadataILi5EEENS1_20FusedAdamMathFunctorIN3c104HalfELi5ELNS0_9ADAM_MODEE0ELb1EEEJPKfdddddbSB_SB_EEEvT_T0_DpT1_
    .private_segment_fixed_size: 0
    .sgpr_count:     42
    .sgpr_spill_count: 0
    .symbol:         _ZN2at6native12_GLOBAL__N_125multi_tensor_apply_kernelINS1_32FusedOptimizerTensorListMetadataILi5EEENS1_20FusedAdamMathFunctorIN3c104HalfELi5ELNS0_9ADAM_MODEE0ELb1EEEJPKfdddddbSB_SB_EEEvT_T0_DpT1_.kd
    .uniform_work_group_size: 1
    .uses_dynamic_stack: false
    .vgpr_count:     81
    .vgpr_spill_count: 0
    .wavefront_size: 32
    .workgroup_processor_mode: 1
  - .args:
      - .offset:         0
        .size:           3288
        .value_kind:     by_value
      - .offset:         3288
        .size:           1
        .value_kind:     by_value
      - .address_space:  global
        .offset:         3296
        .size:           8
        .value_kind:     global_buffer
      - .offset:         3304
        .size:           8
        .value_kind:     by_value
      - .offset:         3312
        .size:           8
        .value_kind:     by_value
      - .offset:         3320
        .size:           8
        .value_kind:     by_value
      - .offset:         3328
        .size:           8
        .value_kind:     by_value
      - .offset:         3336
        .size:           8
        .value_kind:     by_value
      - .offset:         3344
        .size:           1
        .value_kind:     by_value
      - .address_space:  global
        .offset:         3352
        .size:           8
        .value_kind:     global_buffer
      - .address_space:  global
        .offset:         3360
        .size:           8
        .value_kind:     global_buffer
      - .offset:         3368
        .size:           4
        .value_kind:     hidden_block_count_x
      - .offset:         3372
        .size:           4
        .value_kind:     hidden_block_count_y
      - .offset:         3376
        .size:           4
        .value_kind:     hidden_block_count_z
      - .offset:         3380
        .size:           2
        .value_kind:     hidden_group_size_x
      - .offset:         3382
        .size:           2
        .value_kind:     hidden_group_size_y
      - .offset:         3384
        .size:           2
        .value_kind:     hidden_group_size_z
      - .offset:         3386
        .size:           2
        .value_kind:     hidden_remainder_x
      - .offset:         3388
        .size:           2
        .value_kind:     hidden_remainder_y
      - .offset:         3390
        .size:           2
        .value_kind:     hidden_remainder_z
      - .offset:         3408
        .size:           8
        .value_kind:     hidden_global_offset_x
      - .offset:         3416
        .size:           8
        .value_kind:     hidden_global_offset_y
      - .offset:         3424
        .size:           8
        .value_kind:     hidden_global_offset_z
      - .offset:         3432
        .size:           2
        .value_kind:     hidden_grid_dims
    .group_segment_fixed_size: 0
    .kernarg_segment_align: 8
    .kernarg_segment_size: 3624
    .language:       OpenCL C
    .language_version:
      - 2
      - 0
    .max_flat_workgroup_size: 512
    .name:           _ZN2at6native12_GLOBAL__N_125multi_tensor_apply_kernelINS1_32FusedOptimizerTensorListMetadataILi5EEENS1_20FusedAdamMathFunctorIN3c108BFloat16ELi5ELNS0_9ADAM_MODEE0ELb1EEEJPKfdddddbSB_SB_EEEvT_T0_DpT1_
    .private_segment_fixed_size: 0
    .sgpr_count:     41
    .sgpr_spill_count: 0
    .symbol:         _ZN2at6native12_GLOBAL__N_125multi_tensor_apply_kernelINS1_32FusedOptimizerTensorListMetadataILi5EEENS1_20FusedAdamMathFunctorIN3c108BFloat16ELi5ELNS0_9ADAM_MODEE0ELb1EEEJPKfdddddbSB_SB_EEEvT_T0_DpT1_.kd
    .uniform_work_group_size: 1
    .uses_dynamic_stack: false
    .vgpr_count:     81
    .vgpr_spill_count: 0
    .wavefront_size: 32
    .workgroup_processor_mode: 1
amdhsa.target:   amdgcn-amd-amdhsa--gfx1030
amdhsa.version:
  - 1
  - 2
...

	.end_amdgpu_metadata
